;; amdgpu-corpus repo=ROCm/hipCUB kind=compiled arch=gfx1100 opt=O3
	.text
	.amdgcn_target "amdgcn-amd-amdhsa--gfx1100"
	.amdhsa_code_object_version 6
	.section	.text._Z25blocked_to_striped_kernelIsiLj2106ELj9EEvPT_PT0_,"axG",@progbits,_Z25blocked_to_striped_kernelIsiLj2106ELj9EEvPT_PT0_,comdat
	.protected	_Z25blocked_to_striped_kernelIsiLj2106ELj9EEvPT_PT0_ ; -- Begin function _Z25blocked_to_striped_kernelIsiLj2106ELj9EEvPT_PT0_
	.globl	_Z25blocked_to_striped_kernelIsiLj2106ELj9EEvPT_PT0_
	.p2align	8
	.type	_Z25blocked_to_striped_kernelIsiLj2106ELj9EEvPT_PT0_,@function
_Z25blocked_to_striped_kernelIsiLj2106ELj9EEvPT_PT0_: ; @_Z25blocked_to_striped_kernelIsiLj2106ELj9EEvPT_PT0_
; %bb.0:
	s_load_b128 s[0:3], s[0:1], 0x0
	v_mul_u32_u24_e32 v8, 9, v0
	s_mov_b32 s5, 0
	s_mul_i32 s4, s15, 0x83a
	v_lshlrev_b32_e32 v9, 1, v0
	s_lshl_b64 s[6:7], s[4:5], 1
	v_lshlrev_b32_e32 v5, 1, v8
	v_lshlrev_b32_e32 v8, 2, v8
	s_waitcnt lgkmcnt(0)
	s_add_u32 s0, s0, s6
	s_addc_u32 s1, s1, s7
	s_clause 0x1
	global_load_b128 v[1:4], v5, s[0:1]
	global_load_u16 v6, v5, s[0:1] offset:16
	s_lshl_b64 s[0:1], s[4:5], 2
	s_waitcnt vmcnt(1)
	ds_store_b128 v5, v[1:4]
	s_waitcnt vmcnt(0)
	ds_store_b16 v5, v6 offset:16
	s_waitcnt lgkmcnt(0)
	s_barrier
	buffer_gl0_inv
	ds_load_i16 v0, v9
	ds_load_i16 v1, v9 offset:468
	ds_load_i16 v2, v9 offset:936
	;; [unrolled: 1-line block ×8, first 2 shown]
	s_add_u32 s0, s2, s0
	s_addc_u32 s1, s3, s1
	s_waitcnt lgkmcnt(5)
	global_store_b128 v8, v[0:3], s[0:1]
	s_waitcnt lgkmcnt(1)
	global_store_b128 v8, v[4:7], s[0:1] offset:16
	s_waitcnt lgkmcnt(0)
	global_store_b32 v8, v9, s[0:1] offset:32
	s_nop 0
	s_sendmsg sendmsg(MSG_DEALLOC_VGPRS)
	s_endpgm
	.section	.rodata,"a",@progbits
	.p2align	6, 0x0
	.amdhsa_kernel _Z25blocked_to_striped_kernelIsiLj2106ELj9EEvPT_PT0_
		.amdhsa_group_segment_fixed_size 4224
		.amdhsa_private_segment_fixed_size 0
		.amdhsa_kernarg_size 16
		.amdhsa_user_sgpr_count 15
		.amdhsa_user_sgpr_dispatch_ptr 0
		.amdhsa_user_sgpr_queue_ptr 0
		.amdhsa_user_sgpr_kernarg_segment_ptr 1
		.amdhsa_user_sgpr_dispatch_id 0
		.amdhsa_user_sgpr_private_segment_size 0
		.amdhsa_wavefront_size32 1
		.amdhsa_uses_dynamic_stack 0
		.amdhsa_enable_private_segment 0
		.amdhsa_system_sgpr_workgroup_id_x 1
		.amdhsa_system_sgpr_workgroup_id_y 0
		.amdhsa_system_sgpr_workgroup_id_z 0
		.amdhsa_system_sgpr_workgroup_info 0
		.amdhsa_system_vgpr_workitem_id 0
		.amdhsa_next_free_vgpr 10
		.amdhsa_next_free_sgpr 16
		.amdhsa_reserve_vcc 0
		.amdhsa_float_round_mode_32 0
		.amdhsa_float_round_mode_16_64 0
		.amdhsa_float_denorm_mode_32 3
		.amdhsa_float_denorm_mode_16_64 3
		.amdhsa_dx10_clamp 1
		.amdhsa_ieee_mode 1
		.amdhsa_fp16_overflow 0
		.amdhsa_workgroup_processor_mode 1
		.amdhsa_memory_ordered 1
		.amdhsa_forward_progress 0
		.amdhsa_shared_vgpr_count 0
		.amdhsa_exception_fp_ieee_invalid_op 0
		.amdhsa_exception_fp_denorm_src 0
		.amdhsa_exception_fp_ieee_div_zero 0
		.amdhsa_exception_fp_ieee_overflow 0
		.amdhsa_exception_fp_ieee_underflow 0
		.amdhsa_exception_fp_ieee_inexact 0
		.amdhsa_exception_int_div_zero 0
	.end_amdhsa_kernel
	.section	.text._Z25blocked_to_striped_kernelIsiLj2106ELj9EEvPT_PT0_,"axG",@progbits,_Z25blocked_to_striped_kernelIsiLj2106ELj9EEvPT_PT0_,comdat
.Lfunc_end0:
	.size	_Z25blocked_to_striped_kernelIsiLj2106ELj9EEvPT_PT0_, .Lfunc_end0-_Z25blocked_to_striped_kernelIsiLj2106ELj9EEvPT_PT0_
                                        ; -- End function
	.section	.AMDGPU.csdata,"",@progbits
; Kernel info:
; codeLenInByte = 244
; NumSgprs: 16
; NumVgprs: 10
; ScratchSize: 0
; MemoryBound: 0
; FloatMode: 240
; IeeeMode: 1
; LDSByteSize: 4224 bytes/workgroup (compile time only)
; SGPRBlocks: 1
; VGPRBlocks: 1
; NumSGPRsForWavesPerEU: 16
; NumVGPRsForWavesPerEU: 10
; Occupancy: 16
; WaveLimiterHint : 0
; COMPUTE_PGM_RSRC2:SCRATCH_EN: 0
; COMPUTE_PGM_RSRC2:USER_SGPR: 15
; COMPUTE_PGM_RSRC2:TRAP_HANDLER: 0
; COMPUTE_PGM_RSRC2:TGID_X_EN: 1
; COMPUTE_PGM_RSRC2:TGID_Y_EN: 0
; COMPUTE_PGM_RSRC2:TGID_Z_EN: 0
; COMPUTE_PGM_RSRC2:TIDIG_COMP_CNT: 0
	.section	.text._Z25blocked_to_striped_kernelItjLj300ELj3EEvPT_PT0_,"axG",@progbits,_Z25blocked_to_striped_kernelItjLj300ELj3EEvPT_PT0_,comdat
	.protected	_Z25blocked_to_striped_kernelItjLj300ELj3EEvPT_PT0_ ; -- Begin function _Z25blocked_to_striped_kernelItjLj300ELj3EEvPT_PT0_
	.globl	_Z25blocked_to_striped_kernelItjLj300ELj3EEvPT_PT0_
	.p2align	8
	.type	_Z25blocked_to_striped_kernelItjLj300ELj3EEvPT_PT0_,@function
_Z25blocked_to_striped_kernelItjLj300ELj3EEvPT_PT0_: ; @_Z25blocked_to_striped_kernelItjLj300ELj3EEvPT_PT0_
; %bb.0:
	s_load_b128 s[0:3], s[0:1], 0x0
	v_mul_u32_u24_e32 v3, 3, v0
	s_mov_b32 s5, 0
	s_mul_i32 s4, s15, 0x12c
	v_lshlrev_b32_e32 v5, 1, v0
	s_lshl_b64 s[6:7], s[4:5], 1
	v_lshlrev_b32_e32 v1, 1, v3
	v_lshlrev_b32_e32 v3, 2, v3
	s_waitcnt lgkmcnt(0)
	s_add_u32 s0, s0, s6
	s_addc_u32 s1, s1, s7
	s_clause 0x1
	global_load_b32 v2, v1, s[0:1]
	global_load_u16 v4, v1, s[0:1] offset:4
	s_lshl_b64 s[0:1], s[4:5], 2
	s_waitcnt vmcnt(1)
	ds_store_b32 v1, v2
	s_waitcnt vmcnt(0)
	ds_store_b16 v1, v4 offset:4
	s_waitcnt lgkmcnt(0)
	s_barrier
	buffer_gl0_inv
	ds_load_u16 v0, v5
	ds_load_u16 v1, v5 offset:200
	ds_load_u16 v2, v5 offset:400
	s_add_u32 s0, s2, s0
	s_addc_u32 s1, s3, s1
	s_waitcnt lgkmcnt(0)
	global_store_b96 v3, v[0:2], s[0:1]
	s_nop 0
	s_sendmsg sendmsg(MSG_DEALLOC_VGPRS)
	s_endpgm
	.section	.rodata,"a",@progbits
	.p2align	6, 0x0
	.amdhsa_kernel _Z25blocked_to_striped_kernelItjLj300ELj3EEvPT_PT0_
		.amdhsa_group_segment_fixed_size 608
		.amdhsa_private_segment_fixed_size 0
		.amdhsa_kernarg_size 16
		.amdhsa_user_sgpr_count 15
		.amdhsa_user_sgpr_dispatch_ptr 0
		.amdhsa_user_sgpr_queue_ptr 0
		.amdhsa_user_sgpr_kernarg_segment_ptr 1
		.amdhsa_user_sgpr_dispatch_id 0
		.amdhsa_user_sgpr_private_segment_size 0
		.amdhsa_wavefront_size32 1
		.amdhsa_uses_dynamic_stack 0
		.amdhsa_enable_private_segment 0
		.amdhsa_system_sgpr_workgroup_id_x 1
		.amdhsa_system_sgpr_workgroup_id_y 0
		.amdhsa_system_sgpr_workgroup_id_z 0
		.amdhsa_system_sgpr_workgroup_info 0
		.amdhsa_system_vgpr_workitem_id 0
		.amdhsa_next_free_vgpr 6
		.amdhsa_next_free_sgpr 16
		.amdhsa_reserve_vcc 0
		.amdhsa_float_round_mode_32 0
		.amdhsa_float_round_mode_16_64 0
		.amdhsa_float_denorm_mode_32 3
		.amdhsa_float_denorm_mode_16_64 3
		.amdhsa_dx10_clamp 1
		.amdhsa_ieee_mode 1
		.amdhsa_fp16_overflow 0
		.amdhsa_workgroup_processor_mode 1
		.amdhsa_memory_ordered 1
		.amdhsa_forward_progress 0
		.amdhsa_shared_vgpr_count 0
		.amdhsa_exception_fp_ieee_invalid_op 0
		.amdhsa_exception_fp_denorm_src 0
		.amdhsa_exception_fp_ieee_div_zero 0
		.amdhsa_exception_fp_ieee_overflow 0
		.amdhsa_exception_fp_ieee_underflow 0
		.amdhsa_exception_fp_ieee_inexact 0
		.amdhsa_exception_int_div_zero 0
	.end_amdhsa_kernel
	.section	.text._Z25blocked_to_striped_kernelItjLj300ELj3EEvPT_PT0_,"axG",@progbits,_Z25blocked_to_striped_kernelItjLj300ELj3EEvPT_PT0_,comdat
.Lfunc_end1:
	.size	_Z25blocked_to_striped_kernelItjLj300ELj3EEvPT_PT0_, .Lfunc_end1-_Z25blocked_to_striped_kernelItjLj300ELj3EEvPT_PT0_
                                        ; -- End function
	.section	.AMDGPU.csdata,"",@progbits
; Kernel info:
; codeLenInByte = 172
; NumSgprs: 16
; NumVgprs: 6
; ScratchSize: 0
; MemoryBound: 0
; FloatMode: 240
; IeeeMode: 1
; LDSByteSize: 608 bytes/workgroup (compile time only)
; SGPRBlocks: 1
; VGPRBlocks: 0
; NumSGPRsForWavesPerEU: 16
; NumVGPRsForWavesPerEU: 6
; Occupancy: 16
; WaveLimiterHint : 0
; COMPUTE_PGM_RSRC2:SCRATCH_EN: 0
; COMPUTE_PGM_RSRC2:USER_SGPR: 15
; COMPUTE_PGM_RSRC2:TRAP_HANDLER: 0
; COMPUTE_PGM_RSRC2:TGID_X_EN: 1
; COMPUTE_PGM_RSRC2:TGID_Y_EN: 0
; COMPUTE_PGM_RSRC2:TGID_Z_EN: 0
; COMPUTE_PGM_RSRC2:TIDIG_COMP_CNT: 0
	.section	.text._Z25blocked_to_striped_kernelIc5dummyIdELj928ELj2EEvPT_PT0_,"axG",@progbits,_Z25blocked_to_striped_kernelIc5dummyIdELj928ELj2EEvPT_PT0_,comdat
	.protected	_Z25blocked_to_striped_kernelIc5dummyIdELj928ELj2EEvPT_PT0_ ; -- Begin function _Z25blocked_to_striped_kernelIc5dummyIdELj928ELj2EEvPT_PT0_
	.globl	_Z25blocked_to_striped_kernelIc5dummyIdELj928ELj2EEvPT_PT0_
	.p2align	8
	.type	_Z25blocked_to_striped_kernelIc5dummyIdELj928ELj2EEvPT_PT0_,@function
_Z25blocked_to_striped_kernelIc5dummyIdELj928ELj2EEvPT_PT0_: ; @_Z25blocked_to_striped_kernelIc5dummyIdELj928ELj2EEvPT_PT0_
; %bb.0:
	s_load_b128 s[0:3], s[0:1], 0x0
	s_mul_i32 s4, s15, 0x3a0
	v_lshlrev_b32_e32 v1, 1, v0
	v_add_nc_u32_e32 v3, 0x1d0, v0
	v_lshrrev_b32_e32 v4, 4, v0
	v_lshrrev_b32_e32 v5, 5, v0
	s_mov_b32 s5, 0
	s_delay_alu instid0(VALU_DEP_3) | instskip(NEXT) | instid1(VALU_DEP_3)
	v_lshrrev_b32_e32 v3, 5, v3
	v_and_b32_e32 v4, 28, v4
	s_delay_alu instid0(VALU_DEP_3) | instskip(NEXT) | instid1(VALU_DEP_3)
	v_and_b32_e32 v5, 12, v5
	v_and_b32_e32 v3, 28, v3
	s_delay_alu instid0(VALU_DEP_2) | instskip(NEXT) | instid1(VALU_DEP_2)
	v_add_nc_u32_e32 v5, v5, v0
	v_add_nc_u32_e32 v3, v3, v0
	v_lshlrev_b32_e32 v0, 5, v0
	s_waitcnt lgkmcnt(0)
	s_add_u32 s0, s0, s4
	s_addc_u32 s1, s1, 0
	global_load_u16 v2, v1, s[0:1]
	v_add_nc_u32_e32 v1, v4, v1
	s_lshl_b64 s[0:1], s[4:5], 4
	s_delay_alu instid0(SALU_CYCLE_1)
	s_add_u32 s0, s2, s0
	s_addc_u32 s1, s3, s1
	s_waitcnt vmcnt(0)
	v_lshrrev_b16 v4, 8, v2
	ds_store_b8 v1, v2
	ds_store_b8 v1, v4 offset:1
	s_waitcnt lgkmcnt(0)
	s_barrier
	buffer_gl0_inv
	ds_load_i8 v1, v5
	ds_load_i8 v2, v3 offset:464
	s_waitcnt lgkmcnt(1)
	v_add_nc_u32_e32 v3, 1, v1
	v_lshlrev_b32_e32 v4, 1, v1
	s_waitcnt lgkmcnt(0)
	v_add_nc_u32_e32 v5, 1, v2
	v_lshlrev_b32_e32 v7, 1, v2
	v_cvt_f64_i32_e32 v[1:2], v3
	v_cvt_f64_i32_e32 v[3:4], v4
	s_delay_alu instid0(VALU_DEP_4) | instskip(NEXT) | instid1(VALU_DEP_4)
	v_cvt_f64_i32_e32 v[5:6], v5
	v_cvt_f64_i32_e32 v[7:8], v7
	s_clause 0x1
	global_store_b128 v0, v[1:4], s[0:1]
	global_store_b128 v0, v[5:8], s[0:1] offset:16
	s_nop 0
	s_sendmsg sendmsg(MSG_DEALLOC_VGPRS)
	s_endpgm
	.section	.rodata,"a",@progbits
	.p2align	6, 0x0
	.amdhsa_kernel _Z25blocked_to_striped_kernelIc5dummyIdELj928ELj2EEvPT_PT0_
		.amdhsa_group_segment_fixed_size 960
		.amdhsa_private_segment_fixed_size 0
		.amdhsa_kernarg_size 16
		.amdhsa_user_sgpr_count 15
		.amdhsa_user_sgpr_dispatch_ptr 0
		.amdhsa_user_sgpr_queue_ptr 0
		.amdhsa_user_sgpr_kernarg_segment_ptr 1
		.amdhsa_user_sgpr_dispatch_id 0
		.amdhsa_user_sgpr_private_segment_size 0
		.amdhsa_wavefront_size32 1
		.amdhsa_uses_dynamic_stack 0
		.amdhsa_enable_private_segment 0
		.amdhsa_system_sgpr_workgroup_id_x 1
		.amdhsa_system_sgpr_workgroup_id_y 0
		.amdhsa_system_sgpr_workgroup_id_z 0
		.amdhsa_system_sgpr_workgroup_info 0
		.amdhsa_system_vgpr_workitem_id 0
		.amdhsa_next_free_vgpr 9
		.amdhsa_next_free_sgpr 16
		.amdhsa_reserve_vcc 0
		.amdhsa_float_round_mode_32 0
		.amdhsa_float_round_mode_16_64 0
		.amdhsa_float_denorm_mode_32 3
		.amdhsa_float_denorm_mode_16_64 3
		.amdhsa_dx10_clamp 1
		.amdhsa_ieee_mode 1
		.amdhsa_fp16_overflow 0
		.amdhsa_workgroup_processor_mode 1
		.amdhsa_memory_ordered 1
		.amdhsa_forward_progress 0
		.amdhsa_shared_vgpr_count 0
		.amdhsa_exception_fp_ieee_invalid_op 0
		.amdhsa_exception_fp_denorm_src 0
		.amdhsa_exception_fp_ieee_div_zero 0
		.amdhsa_exception_fp_ieee_overflow 0
		.amdhsa_exception_fp_ieee_underflow 0
		.amdhsa_exception_fp_ieee_inexact 0
		.amdhsa_exception_int_div_zero 0
	.end_amdhsa_kernel
	.section	.text._Z25blocked_to_striped_kernelIc5dummyIdELj928ELj2EEvPT_PT0_,"axG",@progbits,_Z25blocked_to_striped_kernelIc5dummyIdELj928ELj2EEvPT_PT0_,comdat
.Lfunc_end2:
	.size	_Z25blocked_to_striped_kernelIc5dummyIdELj928ELj2EEvPT_PT0_, .Lfunc_end2-_Z25blocked_to_striped_kernelIc5dummyIdELj928ELj2EEvPT_PT0_
                                        ; -- End function
	.section	.AMDGPU.csdata,"",@progbits
; Kernel info:
; codeLenInByte = 256
; NumSgprs: 16
; NumVgprs: 9
; ScratchSize: 0
; MemoryBound: 0
; FloatMode: 240
; IeeeMode: 1
; LDSByteSize: 960 bytes/workgroup (compile time only)
; SGPRBlocks: 1
; VGPRBlocks: 1
; NumSGPRsForWavesPerEU: 16
; NumVGPRsForWavesPerEU: 9
; Occupancy: 16
; WaveLimiterHint : 0
; COMPUTE_PGM_RSRC2:SCRATCH_EN: 0
; COMPUTE_PGM_RSRC2:USER_SGPR: 15
; COMPUTE_PGM_RSRC2:TRAP_HANDLER: 0
; COMPUTE_PGM_RSRC2:TGID_X_EN: 1
; COMPUTE_PGM_RSRC2:TGID_Y_EN: 0
; COMPUTE_PGM_RSRC2:TGID_Z_EN: 0
; COMPUTE_PGM_RSRC2:TIDIG_COMP_CNT: 0
	.section	.text._Z25blocked_to_striped_kernelIfiLj165ELj5EEvPT_PT0_,"axG",@progbits,_Z25blocked_to_striped_kernelIfiLj165ELj5EEvPT_PT0_,comdat
	.protected	_Z25blocked_to_striped_kernelIfiLj165ELj5EEvPT_PT0_ ; -- Begin function _Z25blocked_to_striped_kernelIfiLj165ELj5EEvPT_PT0_
	.globl	_Z25blocked_to_striped_kernelIfiLj165ELj5EEvPT_PT0_
	.p2align	8
	.type	_Z25blocked_to_striped_kernelIfiLj165ELj5EEvPT_PT0_,@function
_Z25blocked_to_striped_kernelIfiLj165ELj5EEvPT_PT0_: ; @_Z25blocked_to_striped_kernelIfiLj165ELj5EEvPT_PT0_
; %bb.0:
	s_load_b128 s[0:3], s[0:1], 0x0
	v_mul_u32_u24_e32 v1, 5, v0
	s_mov_b32 s5, 0
	s_mul_i32 s4, s15, 0xa5
	v_lshlrev_b32_e32 v7, 2, v0
	s_lshl_b64 s[4:5], s[4:5], 2
	v_lshlrev_b32_e32 v5, 2, v1
	s_waitcnt lgkmcnt(0)
	s_add_u32 s0, s0, s4
	s_addc_u32 s1, s1, s5
	s_clause 0x1
	global_load_b128 v[1:4], v5, s[0:1]
	global_load_b32 v6, v5, s[0:1] offset:16
	s_add_u32 s0, s2, s4
	s_addc_u32 s1, s3, s5
	s_waitcnt vmcnt(1)
	ds_store_2addr_b32 v5, v1, v2 offset1:1
	ds_store_2addr_b32 v5, v3, v4 offset0:2 offset1:3
	s_waitcnt vmcnt(0)
	ds_store_b32 v5, v6 offset:16
	s_waitcnt lgkmcnt(0)
	s_barrier
	buffer_gl0_inv
	ds_load_2addr_b32 v[0:1], v7 offset1:33
	ds_load_2addr_b32 v[2:3], v7 offset0:66 offset1:99
	ds_load_b32 v4, v7 offset:528
	s_waitcnt lgkmcnt(2)
	v_cvt_i32_f32_e32 v0, v0
	v_cvt_i32_f32_e32 v1, v1
	s_waitcnt lgkmcnt(1)
	v_cvt_i32_f32_e32 v2, v2
	v_cvt_i32_f32_e32 v3, v3
	s_waitcnt lgkmcnt(0)
	v_cvt_i32_f32_e32 v4, v4
	s_clause 0x1
	global_store_b128 v5, v[0:3], s[0:1]
	global_store_b32 v5, v4, s[0:1] offset:16
	s_nop 0
	s_sendmsg sendmsg(MSG_DEALLOC_VGPRS)
	s_endpgm
	.section	.rodata,"a",@progbits
	.p2align	6, 0x0
	.amdhsa_kernel _Z25blocked_to_striped_kernelIfiLj165ELj5EEvPT_PT0_
		.amdhsa_group_segment_fixed_size 672
		.amdhsa_private_segment_fixed_size 0
		.amdhsa_kernarg_size 16
		.amdhsa_user_sgpr_count 15
		.amdhsa_user_sgpr_dispatch_ptr 0
		.amdhsa_user_sgpr_queue_ptr 0
		.amdhsa_user_sgpr_kernarg_segment_ptr 1
		.amdhsa_user_sgpr_dispatch_id 0
		.amdhsa_user_sgpr_private_segment_size 0
		.amdhsa_wavefront_size32 1
		.amdhsa_uses_dynamic_stack 0
		.amdhsa_enable_private_segment 0
		.amdhsa_system_sgpr_workgroup_id_x 1
		.amdhsa_system_sgpr_workgroup_id_y 0
		.amdhsa_system_sgpr_workgroup_id_z 0
		.amdhsa_system_sgpr_workgroup_info 0
		.amdhsa_system_vgpr_workitem_id 0
		.amdhsa_next_free_vgpr 8
		.amdhsa_next_free_sgpr 16
		.amdhsa_reserve_vcc 0
		.amdhsa_float_round_mode_32 0
		.amdhsa_float_round_mode_16_64 0
		.amdhsa_float_denorm_mode_32 3
		.amdhsa_float_denorm_mode_16_64 3
		.amdhsa_dx10_clamp 1
		.amdhsa_ieee_mode 1
		.amdhsa_fp16_overflow 0
		.amdhsa_workgroup_processor_mode 1
		.amdhsa_memory_ordered 1
		.amdhsa_forward_progress 0
		.amdhsa_shared_vgpr_count 0
		.amdhsa_exception_fp_ieee_invalid_op 0
		.amdhsa_exception_fp_denorm_src 0
		.amdhsa_exception_fp_ieee_div_zero 0
		.amdhsa_exception_fp_ieee_overflow 0
		.amdhsa_exception_fp_ieee_underflow 0
		.amdhsa_exception_fp_ieee_inexact 0
		.amdhsa_exception_int_div_zero 0
	.end_amdhsa_kernel
	.section	.text._Z25blocked_to_striped_kernelIfiLj165ELj5EEvPT_PT0_,"axG",@progbits,_Z25blocked_to_striped_kernelIfiLj165ELj5EEvPT_PT0_,comdat
.Lfunc_end3:
	.size	_Z25blocked_to_striped_kernelIfiLj165ELj5EEvPT_PT0_, .Lfunc_end3-_Z25blocked_to_striped_kernelIfiLj165ELj5EEvPT_PT0_
                                        ; -- End function
	.section	.AMDGPU.csdata,"",@progbits
; Kernel info:
; codeLenInByte = 212
; NumSgprs: 16
; NumVgprs: 8
; ScratchSize: 0
; MemoryBound: 0
; FloatMode: 240
; IeeeMode: 1
; LDSByteSize: 672 bytes/workgroup (compile time only)
; SGPRBlocks: 1
; VGPRBlocks: 0
; NumSGPRsForWavesPerEU: 16
; NumVGPRsForWavesPerEU: 8
; Occupancy: 16
; WaveLimiterHint : 0
; COMPUTE_PGM_RSRC2:SCRATCH_EN: 0
; COMPUTE_PGM_RSRC2:USER_SGPR: 15
; COMPUTE_PGM_RSRC2:TRAP_HANDLER: 0
; COMPUTE_PGM_RSRC2:TGID_X_EN: 1
; COMPUTE_PGM_RSRC2:TGID_Y_EN: 0
; COMPUTE_PGM_RSRC2:TGID_Z_EN: 0
; COMPUTE_PGM_RSRC2:TIDIG_COMP_CNT: 0
	.section	.text._Z25blocked_to_striped_kernelIidLj165ELj5EEvPT_PT0_,"axG",@progbits,_Z25blocked_to_striped_kernelIidLj165ELj5EEvPT_PT0_,comdat
	.protected	_Z25blocked_to_striped_kernelIidLj165ELj5EEvPT_PT0_ ; -- Begin function _Z25blocked_to_striped_kernelIidLj165ELj5EEvPT_PT0_
	.globl	_Z25blocked_to_striped_kernelIidLj165ELj5EEvPT_PT0_
	.p2align	8
	.type	_Z25blocked_to_striped_kernelIidLj165ELj5EEvPT_PT0_,@function
_Z25blocked_to_striped_kernelIidLj165ELj5EEvPT_PT0_: ; @_Z25blocked_to_striped_kernelIidLj165ELj5EEvPT_PT0_
; %bb.0:
	s_load_b128 s[0:3], s[0:1], 0x0
	v_mul_u32_u24_e32 v10, 5, v0
	s_mov_b32 s5, 0
	s_mul_i32 s4, s15, 0xa5
	v_lshlrev_b32_e32 v0, 2, v0
	s_lshl_b64 s[6:7], s[4:5], 2
	v_lshlrev_b32_e32 v5, 2, v10
	v_lshlrev_b32_e32 v10, 3, v10
	s_waitcnt lgkmcnt(0)
	s_add_u32 s0, s0, s6
	s_addc_u32 s1, s1, s7
	s_clause 0x1
	global_load_b128 v[1:4], v5, s[0:1]
	global_load_b32 v6, v5, s[0:1] offset:16
	s_lshl_b64 s[0:1], s[4:5], 3
	s_waitcnt vmcnt(1)
	ds_store_2addr_b32 v5, v1, v2 offset1:1
	ds_store_2addr_b32 v5, v3, v4 offset0:2 offset1:3
	s_waitcnt vmcnt(0)
	ds_store_b32 v5, v6 offset:16
	s_waitcnt lgkmcnt(0)
	s_barrier
	buffer_gl0_inv
	ds_load_2addr_b32 v[1:2], v0 offset1:33
	ds_load_2addr_b32 v[5:6], v0 offset0:66 offset1:99
	ds_load_b32 v8, v0 offset:528
	s_add_u32 s0, s2, s0
	s_addc_u32 s1, s3, s1
	s_waitcnt lgkmcnt(2)
	v_cvt_f64_i32_e32 v[0:1], v1
	v_cvt_f64_i32_e32 v[2:3], v2
	s_waitcnt lgkmcnt(1)
	v_cvt_f64_i32_e32 v[4:5], v5
	v_cvt_f64_i32_e32 v[6:7], v6
	s_waitcnt lgkmcnt(0)
	v_cvt_f64_i32_e32 v[8:9], v8
	s_clause 0x2
	global_store_b128 v10, v[0:3], s[0:1]
	global_store_b128 v10, v[4:7], s[0:1] offset:16
	global_store_b64 v10, v[8:9], s[0:1] offset:32
	s_nop 0
	s_sendmsg sendmsg(MSG_DEALLOC_VGPRS)
	s_endpgm
	.section	.rodata,"a",@progbits
	.p2align	6, 0x0
	.amdhsa_kernel _Z25blocked_to_striped_kernelIidLj165ELj5EEvPT_PT0_
		.amdhsa_group_segment_fixed_size 672
		.amdhsa_private_segment_fixed_size 0
		.amdhsa_kernarg_size 16
		.amdhsa_user_sgpr_count 15
		.amdhsa_user_sgpr_dispatch_ptr 0
		.amdhsa_user_sgpr_queue_ptr 0
		.amdhsa_user_sgpr_kernarg_segment_ptr 1
		.amdhsa_user_sgpr_dispatch_id 0
		.amdhsa_user_sgpr_private_segment_size 0
		.amdhsa_wavefront_size32 1
		.amdhsa_uses_dynamic_stack 0
		.amdhsa_enable_private_segment 0
		.amdhsa_system_sgpr_workgroup_id_x 1
		.amdhsa_system_sgpr_workgroup_id_y 0
		.amdhsa_system_sgpr_workgroup_id_z 0
		.amdhsa_system_sgpr_workgroup_info 0
		.amdhsa_system_vgpr_workitem_id 0
		.amdhsa_next_free_vgpr 11
		.amdhsa_next_free_sgpr 16
		.amdhsa_reserve_vcc 0
		.amdhsa_float_round_mode_32 0
		.amdhsa_float_round_mode_16_64 0
		.amdhsa_float_denorm_mode_32 3
		.amdhsa_float_denorm_mode_16_64 3
		.amdhsa_dx10_clamp 1
		.amdhsa_ieee_mode 1
		.amdhsa_fp16_overflow 0
		.amdhsa_workgroup_processor_mode 1
		.amdhsa_memory_ordered 1
		.amdhsa_forward_progress 0
		.amdhsa_shared_vgpr_count 0
		.amdhsa_exception_fp_ieee_invalid_op 0
		.amdhsa_exception_fp_denorm_src 0
		.amdhsa_exception_fp_ieee_div_zero 0
		.amdhsa_exception_fp_ieee_overflow 0
		.amdhsa_exception_fp_ieee_underflow 0
		.amdhsa_exception_fp_ieee_inexact 0
		.amdhsa_exception_int_div_zero 0
	.end_amdhsa_kernel
	.section	.text._Z25blocked_to_striped_kernelIidLj165ELj5EEvPT_PT0_,"axG",@progbits,_Z25blocked_to_striped_kernelIidLj165ELj5EEvPT_PT0_,comdat
.Lfunc_end4:
	.size	_Z25blocked_to_striped_kernelIidLj165ELj5EEvPT_PT0_, .Lfunc_end4-_Z25blocked_to_striped_kernelIidLj165ELj5EEvPT_PT0_
                                        ; -- End function
	.section	.AMDGPU.csdata,"",@progbits
; Kernel info:
; codeLenInByte = 228
; NumSgprs: 16
; NumVgprs: 11
; ScratchSize: 0
; MemoryBound: 0
; FloatMode: 240
; IeeeMode: 1
; LDSByteSize: 672 bytes/workgroup (compile time only)
; SGPRBlocks: 1
; VGPRBlocks: 1
; NumSGPRsForWavesPerEU: 16
; NumVGPRsForWavesPerEU: 11
; Occupancy: 16
; WaveLimiterHint : 0
; COMPUTE_PGM_RSRC2:SCRATCH_EN: 0
; COMPUTE_PGM_RSRC2:USER_SGPR: 15
; COMPUTE_PGM_RSRC2:TRAP_HANDLER: 0
; COMPUTE_PGM_RSRC2:TGID_X_EN: 1
; COMPUTE_PGM_RSRC2:TGID_Y_EN: 0
; COMPUTE_PGM_RSRC2:TGID_Z_EN: 0
; COMPUTE_PGM_RSRC2:TIDIG_COMP_CNT: 0
	.section	.text._Z25blocked_to_striped_kernelIyyLj192ELj3EEvPT_PT0_,"axG",@progbits,_Z25blocked_to_striped_kernelIyyLj192ELj3EEvPT_PT0_,comdat
	.protected	_Z25blocked_to_striped_kernelIyyLj192ELj3EEvPT_PT0_ ; -- Begin function _Z25blocked_to_striped_kernelIyyLj192ELj3EEvPT_PT0_
	.globl	_Z25blocked_to_striped_kernelIyyLj192ELj3EEvPT_PT0_
	.p2align	8
	.type	_Z25blocked_to_striped_kernelIyyLj192ELj3EEvPT_PT0_,@function
_Z25blocked_to_striped_kernelIyyLj192ELj3EEvPT_PT0_: ; @_Z25blocked_to_striped_kernelIyyLj192ELj3EEvPT_PT0_
; %bb.0:
	s_load_b128 s[0:3], s[0:1], 0x0
	v_mul_u32_u24_e32 v1, 3, v0
	s_mov_b32 s5, 0
	s_mul_i32 s4, s15, 0xc0
	v_lshlrev_b32_e32 v8, 3, v0
	s_lshl_b64 s[4:5], s[4:5], 3
	v_lshlrev_b32_e32 v7, 3, v1
	s_waitcnt lgkmcnt(0)
	s_add_u32 s0, s0, s4
	s_addc_u32 s1, s1, s5
	s_clause 0x1
	global_load_b128 v[1:4], v7, s[0:1]
	global_load_b64 v[5:6], v7, s[0:1] offset:16
	s_add_u32 s0, s2, s4
	s_addc_u32 s1, s3, s5
	s_waitcnt vmcnt(1)
	ds_store_2addr_b64 v7, v[1:2], v[3:4] offset1:1
	s_waitcnt vmcnt(0)
	ds_store_b64 v7, v[5:6] offset:16
	s_waitcnt lgkmcnt(0)
	s_barrier
	buffer_gl0_inv
	ds_load_2addr_stride64_b64 v[0:3], v8 offset1:1
	ds_load_b64 v[4:5], v8 offset:1024
	s_waitcnt lgkmcnt(1)
	global_store_b128 v7, v[0:3], s[0:1]
	s_waitcnt lgkmcnt(0)
	global_store_b64 v7, v[4:5], s[0:1] offset:16
	s_nop 0
	s_sendmsg sendmsg(MSG_DEALLOC_VGPRS)
	s_endpgm
	.section	.rodata,"a",@progbits
	.p2align	6, 0x0
	.amdhsa_kernel _Z25blocked_to_striped_kernelIyyLj192ELj3EEvPT_PT0_
		.amdhsa_group_segment_fixed_size 1536
		.amdhsa_private_segment_fixed_size 0
		.amdhsa_kernarg_size 16
		.amdhsa_user_sgpr_count 15
		.amdhsa_user_sgpr_dispatch_ptr 0
		.amdhsa_user_sgpr_queue_ptr 0
		.amdhsa_user_sgpr_kernarg_segment_ptr 1
		.amdhsa_user_sgpr_dispatch_id 0
		.amdhsa_user_sgpr_private_segment_size 0
		.amdhsa_wavefront_size32 1
		.amdhsa_uses_dynamic_stack 0
		.amdhsa_enable_private_segment 0
		.amdhsa_system_sgpr_workgroup_id_x 1
		.amdhsa_system_sgpr_workgroup_id_y 0
		.amdhsa_system_sgpr_workgroup_id_z 0
		.amdhsa_system_sgpr_workgroup_info 0
		.amdhsa_system_vgpr_workitem_id 0
		.amdhsa_next_free_vgpr 9
		.amdhsa_next_free_sgpr 16
		.amdhsa_reserve_vcc 0
		.amdhsa_float_round_mode_32 0
		.amdhsa_float_round_mode_16_64 0
		.amdhsa_float_denorm_mode_32 3
		.amdhsa_float_denorm_mode_16_64 3
		.amdhsa_dx10_clamp 1
		.amdhsa_ieee_mode 1
		.amdhsa_fp16_overflow 0
		.amdhsa_workgroup_processor_mode 1
		.amdhsa_memory_ordered 1
		.amdhsa_forward_progress 0
		.amdhsa_shared_vgpr_count 0
		.amdhsa_exception_fp_ieee_invalid_op 0
		.amdhsa_exception_fp_denorm_src 0
		.amdhsa_exception_fp_ieee_div_zero 0
		.amdhsa_exception_fp_ieee_overflow 0
		.amdhsa_exception_fp_ieee_underflow 0
		.amdhsa_exception_fp_ieee_inexact 0
		.amdhsa_exception_int_div_zero 0
	.end_amdhsa_kernel
	.section	.text._Z25blocked_to_striped_kernelIyyLj192ELj3EEvPT_PT0_,"axG",@progbits,_Z25blocked_to_striped_kernelIyyLj192ELj3EEvPT_PT0_,comdat
.Lfunc_end5:
	.size	_Z25blocked_to_striped_kernelIyyLj192ELj3EEvPT_PT0_, .Lfunc_end5-_Z25blocked_to_striped_kernelIyyLj192ELj3EEvPT_PT0_
                                        ; -- End function
	.section	.AMDGPU.csdata,"",@progbits
; Kernel info:
; codeLenInByte = 168
; NumSgprs: 16
; NumVgprs: 9
; ScratchSize: 0
; MemoryBound: 1
; FloatMode: 240
; IeeeMode: 1
; LDSByteSize: 1536 bytes/workgroup (compile time only)
; SGPRBlocks: 1
; VGPRBlocks: 1
; NumSGPRsForWavesPerEU: 16
; NumVGPRsForWavesPerEU: 9
; Occupancy: 16
; WaveLimiterHint : 1
; COMPUTE_PGM_RSRC2:SCRATCH_EN: 0
; COMPUTE_PGM_RSRC2:USER_SGPR: 15
; COMPUTE_PGM_RSRC2:TRAP_HANDLER: 0
; COMPUTE_PGM_RSRC2:TGID_X_EN: 1
; COMPUTE_PGM_RSRC2:TGID_Y_EN: 0
; COMPUTE_PGM_RSRC2:TGID_Z_EN: 0
; COMPUTE_PGM_RSRC2:TIDIG_COMP_CNT: 0
	.section	.text._Z25blocked_to_striped_kernelIiiLj384ELj3EEvPT_PT0_,"axG",@progbits,_Z25blocked_to_striped_kernelIiiLj384ELj3EEvPT_PT0_,comdat
	.protected	_Z25blocked_to_striped_kernelIiiLj384ELj3EEvPT_PT0_ ; -- Begin function _Z25blocked_to_striped_kernelIiiLj384ELj3EEvPT_PT0_
	.globl	_Z25blocked_to_striped_kernelIiiLj384ELj3EEvPT_PT0_
	.p2align	8
	.type	_Z25blocked_to_striped_kernelIiiLj384ELj3EEvPT_PT0_,@function
_Z25blocked_to_striped_kernelIiiLj384ELj3EEvPT_PT0_: ; @_Z25blocked_to_striped_kernelIiiLj384ELj3EEvPT_PT0_
; %bb.0:
	s_load_b128 s[0:3], s[0:1], 0x0
	v_mul_u32_u24_e32 v1, 3, v0
	s_mov_b32 s5, 0
	s_mul_i32 s4, s15, 0x180
	v_lshlrev_b32_e32 v5, 2, v0
	s_lshl_b64 s[4:5], s[4:5], 2
	v_lshlrev_b32_e32 v4, 2, v1
	s_waitcnt lgkmcnt(0)
	s_add_u32 s0, s0, s4
	s_addc_u32 s1, s1, s5
	global_load_b96 v[1:3], v4, s[0:1]
	s_add_u32 s0, s2, s4
	s_addc_u32 s1, s3, s5
	s_waitcnt vmcnt(0)
	ds_store_2addr_b32 v4, v1, v2 offset1:1
	ds_store_b32 v4, v3 offset:8
	s_waitcnt lgkmcnt(0)
	s_barrier
	buffer_gl0_inv
	ds_load_2addr_stride64_b32 v[0:1], v5 offset1:2
	ds_load_b32 v2, v5 offset:1024
	s_waitcnt lgkmcnt(0)
	global_store_b96 v4, v[0:2], s[0:1]
	s_nop 0
	s_sendmsg sendmsg(MSG_DEALLOC_VGPRS)
	s_endpgm
	.section	.rodata,"a",@progbits
	.p2align	6, 0x0
	.amdhsa_kernel _Z25blocked_to_striped_kernelIiiLj384ELj3EEvPT_PT0_
		.amdhsa_group_segment_fixed_size 1536
		.amdhsa_private_segment_fixed_size 0
		.amdhsa_kernarg_size 16
		.amdhsa_user_sgpr_count 15
		.amdhsa_user_sgpr_dispatch_ptr 0
		.amdhsa_user_sgpr_queue_ptr 0
		.amdhsa_user_sgpr_kernarg_segment_ptr 1
		.amdhsa_user_sgpr_dispatch_id 0
		.amdhsa_user_sgpr_private_segment_size 0
		.amdhsa_wavefront_size32 1
		.amdhsa_uses_dynamic_stack 0
		.amdhsa_enable_private_segment 0
		.amdhsa_system_sgpr_workgroup_id_x 1
		.amdhsa_system_sgpr_workgroup_id_y 0
		.amdhsa_system_sgpr_workgroup_id_z 0
		.amdhsa_system_sgpr_workgroup_info 0
		.amdhsa_system_vgpr_workitem_id 0
		.amdhsa_next_free_vgpr 6
		.amdhsa_next_free_sgpr 16
		.amdhsa_reserve_vcc 0
		.amdhsa_float_round_mode_32 0
		.amdhsa_float_round_mode_16_64 0
		.amdhsa_float_denorm_mode_32 3
		.amdhsa_float_denorm_mode_16_64 3
		.amdhsa_dx10_clamp 1
		.amdhsa_ieee_mode 1
		.amdhsa_fp16_overflow 0
		.amdhsa_workgroup_processor_mode 1
		.amdhsa_memory_ordered 1
		.amdhsa_forward_progress 0
		.amdhsa_shared_vgpr_count 0
		.amdhsa_exception_fp_ieee_invalid_op 0
		.amdhsa_exception_fp_denorm_src 0
		.amdhsa_exception_fp_ieee_div_zero 0
		.amdhsa_exception_fp_ieee_overflow 0
		.amdhsa_exception_fp_ieee_underflow 0
		.amdhsa_exception_fp_ieee_inexact 0
		.amdhsa_exception_int_div_zero 0
	.end_amdhsa_kernel
	.section	.text._Z25blocked_to_striped_kernelIiiLj384ELj3EEvPT_PT0_,"axG",@progbits,_Z25blocked_to_striped_kernelIiiLj384ELj3EEvPT_PT0_,comdat
.Lfunc_end6:
	.size	_Z25blocked_to_striped_kernelIiiLj384ELj3EEvPT_PT0_, .Lfunc_end6-_Z25blocked_to_striped_kernelIiiLj384ELj3EEvPT_PT0_
                                        ; -- End function
	.section	.AMDGPU.csdata,"",@progbits
; Kernel info:
; codeLenInByte = 140
; NumSgprs: 16
; NumVgprs: 6
; ScratchSize: 0
; MemoryBound: 0
; FloatMode: 240
; IeeeMode: 1
; LDSByteSize: 1536 bytes/workgroup (compile time only)
; SGPRBlocks: 1
; VGPRBlocks: 0
; NumSGPRsForWavesPerEU: 16
; NumVGPRsForWavesPerEU: 6
; Occupancy: 16
; WaveLimiterHint : 0
; COMPUTE_PGM_RSRC2:SCRATCH_EN: 0
; COMPUTE_PGM_RSRC2:USER_SGPR: 15
; COMPUTE_PGM_RSRC2:TRAP_HANDLER: 0
; COMPUTE_PGM_RSRC2:TGID_X_EN: 1
; COMPUTE_PGM_RSRC2:TGID_Y_EN: 0
; COMPUTE_PGM_RSRC2:TGID_Z_EN: 0
; COMPUTE_PGM_RSRC2:TIDIG_COMP_CNT: 0
	.section	.text._Z25blocked_to_striped_kernelIs5dummyIfELj896ELj7EEvPT_PT0_,"axG",@progbits,_Z25blocked_to_striped_kernelIs5dummyIfELj896ELj7EEvPT_PT0_,comdat
	.protected	_Z25blocked_to_striped_kernelIs5dummyIfELj896ELj7EEvPT_PT0_ ; -- Begin function _Z25blocked_to_striped_kernelIs5dummyIfELj896ELj7EEvPT_PT0_
	.globl	_Z25blocked_to_striped_kernelIs5dummyIfELj896ELj7EEvPT_PT0_
	.p2align	8
	.type	_Z25blocked_to_striped_kernelIs5dummyIfELj896ELj7EEvPT_PT0_,@function
_Z25blocked_to_striped_kernelIs5dummyIfELj896ELj7EEvPT_PT0_: ; @_Z25blocked_to_striped_kernelIs5dummyIfELj896ELj7EEvPT_PT0_
; %bb.0:
	s_load_b128 s[0:3], s[0:1], 0x0
	v_mul_u32_u24_e32 v4, 7, v0
	s_mov_b32 s5, 0
	s_mul_i32 s4, s15, 0x380
	v_lshlrev_b32_e32 v0, 1, v0
	s_lshl_b64 s[6:7], s[4:5], 1
	v_lshlrev_b32_e32 v5, 1, v4
	v_lshlrev_b32_e32 v14, 3, v4
	s_waitcnt lgkmcnt(0)
	s_add_u32 s0, s0, s6
	s_addc_u32 s1, s1, s7
	s_clause 0x1
	global_load_b96 v[1:3], v5, s[0:1]
	global_load_u16 v6, v5, s[0:1] offset:12
	s_lshl_b64 s[0:1], s[4:5], 3
	s_waitcnt vmcnt(1)
	ds_store_b96 v5, v[1:3]
	s_waitcnt vmcnt(0)
	ds_store_b16 v5, v6 offset:12
	s_waitcnt lgkmcnt(0)
	s_barrier
	buffer_gl0_inv
	ds_load_i16 v1, v0
	ds_load_i16 v2, v0 offset:256
	ds_load_i16 v3, v0 offset:512
	;; [unrolled: 1-line block ×6, first 2 shown]
	s_add_u32 s0, s2, s0
	s_addc_u32 s1, s3, s1
	s_waitcnt lgkmcnt(6)
	v_add_nc_u32_e32 v4, 1, v1
	v_lshlrev_b32_e32 v1, 1, v1
	s_waitcnt lgkmcnt(5)
	v_add_nc_u32_e32 v8, 1, v2
	v_lshlrev_b32_e32 v9, 1, v2
	;; [unrolled: 3-line block ×7, first 2 shown]
	v_cvt_f32_i32_e32 v0, v4
	v_cvt_f32_i32_e32 v1, v1
	;; [unrolled: 1-line block ×14, first 2 shown]
	s_clause 0x3
	global_store_b128 v14, v[0:3], s[0:1]
	global_store_b128 v14, v[4:7], s[0:1] offset:16
	global_store_b128 v14, v[8:11], s[0:1] offset:32
	global_store_b64 v14, v[12:13], s[0:1] offset:48
	s_nop 0
	s_sendmsg sendmsg(MSG_DEALLOC_VGPRS)
	s_endpgm
	.section	.rodata,"a",@progbits
	.p2align	6, 0x0
	.amdhsa_kernel _Z25blocked_to_striped_kernelIs5dummyIfELj896ELj7EEvPT_PT0_
		.amdhsa_group_segment_fixed_size 1792
		.amdhsa_private_segment_fixed_size 0
		.amdhsa_kernarg_size 16
		.amdhsa_user_sgpr_count 15
		.amdhsa_user_sgpr_dispatch_ptr 0
		.amdhsa_user_sgpr_queue_ptr 0
		.amdhsa_user_sgpr_kernarg_segment_ptr 1
		.amdhsa_user_sgpr_dispatch_id 0
		.amdhsa_user_sgpr_private_segment_size 0
		.amdhsa_wavefront_size32 1
		.amdhsa_uses_dynamic_stack 0
		.amdhsa_enable_private_segment 0
		.amdhsa_system_sgpr_workgroup_id_x 1
		.amdhsa_system_sgpr_workgroup_id_y 0
		.amdhsa_system_sgpr_workgroup_id_z 0
		.amdhsa_system_sgpr_workgroup_info 0
		.amdhsa_system_vgpr_workitem_id 0
		.amdhsa_next_free_vgpr 21
		.amdhsa_next_free_sgpr 16
		.amdhsa_reserve_vcc 0
		.amdhsa_float_round_mode_32 0
		.amdhsa_float_round_mode_16_64 0
		.amdhsa_float_denorm_mode_32 3
		.amdhsa_float_denorm_mode_16_64 3
		.amdhsa_dx10_clamp 1
		.amdhsa_ieee_mode 1
		.amdhsa_fp16_overflow 0
		.amdhsa_workgroup_processor_mode 1
		.amdhsa_memory_ordered 1
		.amdhsa_forward_progress 0
		.amdhsa_shared_vgpr_count 0
		.amdhsa_exception_fp_ieee_invalid_op 0
		.amdhsa_exception_fp_denorm_src 0
		.amdhsa_exception_fp_ieee_div_zero 0
		.amdhsa_exception_fp_ieee_overflow 0
		.amdhsa_exception_fp_ieee_underflow 0
		.amdhsa_exception_fp_ieee_inexact 0
		.amdhsa_exception_int_div_zero 0
	.end_amdhsa_kernel
	.section	.text._Z25blocked_to_striped_kernelIs5dummyIfELj896ELj7EEvPT_PT0_,"axG",@progbits,_Z25blocked_to_striped_kernelIs5dummyIfELj896ELj7EEvPT_PT0_,comdat
.Lfunc_end7:
	.size	_Z25blocked_to_striped_kernelIs5dummyIfELj896ELj7EEvPT_PT0_, .Lfunc_end7-_Z25blocked_to_striped_kernelIs5dummyIfELj896ELj7EEvPT_PT0_
                                        ; -- End function
	.section	.AMDGPU.csdata,"",@progbits
; Kernel info:
; codeLenInByte = 368
; NumSgprs: 16
; NumVgprs: 21
; ScratchSize: 0
; MemoryBound: 0
; FloatMode: 240
; IeeeMode: 1
; LDSByteSize: 1792 bytes/workgroup (compile time only)
; SGPRBlocks: 1
; VGPRBlocks: 2
; NumSGPRsForWavesPerEU: 16
; NumVGPRsForWavesPerEU: 21
; Occupancy: 16
; WaveLimiterHint : 0
; COMPUTE_PGM_RSRC2:SCRATCH_EN: 0
; COMPUTE_PGM_RSRC2:USER_SGPR: 15
; COMPUTE_PGM_RSRC2:TRAP_HANDLER: 0
; COMPUTE_PGM_RSRC2:TGID_X_EN: 1
; COMPUTE_PGM_RSRC2:TGID_Y_EN: 0
; COMPUTE_PGM_RSRC2:TGID_Z_EN: 0
; COMPUTE_PGM_RSRC2:TIDIG_COMP_CNT: 0
	.section	.text._Z25blocked_to_striped_kernelIiiLj2560ELj5EEvPT_PT0_,"axG",@progbits,_Z25blocked_to_striped_kernelIiiLj2560ELj5EEvPT_PT0_,comdat
	.protected	_Z25blocked_to_striped_kernelIiiLj2560ELj5EEvPT_PT0_ ; -- Begin function _Z25blocked_to_striped_kernelIiiLj2560ELj5EEvPT_PT0_
	.globl	_Z25blocked_to_striped_kernelIiiLj2560ELj5EEvPT_PT0_
	.p2align	8
	.type	_Z25blocked_to_striped_kernelIiiLj2560ELj5EEvPT_PT0_,@function
_Z25blocked_to_striped_kernelIiiLj2560ELj5EEvPT_PT0_: ; @_Z25blocked_to_striped_kernelIiiLj2560ELj5EEvPT_PT0_
; %bb.0:
	s_load_b128 s[0:3], s[0:1], 0x0
	v_mul_u32_u24_e32 v1, 5, v0
	s_mov_b32 s5, 0
	s_mul_i32 s4, s15, 0xa00
	v_lshlrev_b32_e32 v7, 2, v0
	s_lshl_b64 s[4:5], s[4:5], 2
	v_lshlrev_b32_e32 v5, 2, v1
	s_waitcnt lgkmcnt(0)
	s_add_u32 s0, s0, s4
	s_addc_u32 s1, s1, s5
	s_clause 0x1
	global_load_b128 v[1:4], v5, s[0:1]
	global_load_b32 v6, v5, s[0:1] offset:16
	s_add_u32 s0, s2, s4
	s_addc_u32 s1, s3, s5
	s_waitcnt vmcnt(1)
	ds_store_2addr_b32 v5, v1, v2 offset1:1
	ds_store_2addr_b32 v5, v3, v4 offset0:2 offset1:3
	s_waitcnt vmcnt(0)
	ds_store_b32 v5, v6 offset:16
	s_waitcnt lgkmcnt(0)
	s_barrier
	buffer_gl0_inv
	ds_load_2addr_stride64_b32 v[0:1], v7 offset1:8
	ds_load_2addr_stride64_b32 v[2:3], v7 offset0:16 offset1:24
	ds_load_b32 v4, v7 offset:8192
	s_waitcnt lgkmcnt(1)
	global_store_b128 v5, v[0:3], s[0:1]
	s_waitcnt lgkmcnt(0)
	global_store_b32 v5, v4, s[0:1] offset:16
	s_nop 0
	s_sendmsg sendmsg(MSG_DEALLOC_VGPRS)
	s_endpgm
	.section	.rodata,"a",@progbits
	.p2align	6, 0x0
	.amdhsa_kernel _Z25blocked_to_striped_kernelIiiLj2560ELj5EEvPT_PT0_
		.amdhsa_group_segment_fixed_size 10240
		.amdhsa_private_segment_fixed_size 0
		.amdhsa_kernarg_size 16
		.amdhsa_user_sgpr_count 15
		.amdhsa_user_sgpr_dispatch_ptr 0
		.amdhsa_user_sgpr_queue_ptr 0
		.amdhsa_user_sgpr_kernarg_segment_ptr 1
		.amdhsa_user_sgpr_dispatch_id 0
		.amdhsa_user_sgpr_private_segment_size 0
		.amdhsa_wavefront_size32 1
		.amdhsa_uses_dynamic_stack 0
		.amdhsa_enable_private_segment 0
		.amdhsa_system_sgpr_workgroup_id_x 1
		.amdhsa_system_sgpr_workgroup_id_y 0
		.amdhsa_system_sgpr_workgroup_id_z 0
		.amdhsa_system_sgpr_workgroup_info 0
		.amdhsa_system_vgpr_workitem_id 0
		.amdhsa_next_free_vgpr 8
		.amdhsa_next_free_sgpr 16
		.amdhsa_reserve_vcc 0
		.amdhsa_float_round_mode_32 0
		.amdhsa_float_round_mode_16_64 0
		.amdhsa_float_denorm_mode_32 3
		.amdhsa_float_denorm_mode_16_64 3
		.amdhsa_dx10_clamp 1
		.amdhsa_ieee_mode 1
		.amdhsa_fp16_overflow 0
		.amdhsa_workgroup_processor_mode 1
		.amdhsa_memory_ordered 1
		.amdhsa_forward_progress 0
		.amdhsa_shared_vgpr_count 0
		.amdhsa_exception_fp_ieee_invalid_op 0
		.amdhsa_exception_fp_denorm_src 0
		.amdhsa_exception_fp_ieee_div_zero 0
		.amdhsa_exception_fp_ieee_overflow 0
		.amdhsa_exception_fp_ieee_underflow 0
		.amdhsa_exception_fp_ieee_inexact 0
		.amdhsa_exception_int_div_zero 0
	.end_amdhsa_kernel
	.section	.text._Z25blocked_to_striped_kernelIiiLj2560ELj5EEvPT_PT0_,"axG",@progbits,_Z25blocked_to_striped_kernelIiiLj2560ELj5EEvPT_PT0_,comdat
.Lfunc_end8:
	.size	_Z25blocked_to_striped_kernelIiiLj2560ELj5EEvPT_PT0_, .Lfunc_end8-_Z25blocked_to_striped_kernelIiiLj2560ELj5EEvPT_PT0_
                                        ; -- End function
	.section	.AMDGPU.csdata,"",@progbits
; Kernel info:
; codeLenInByte = 184
; NumSgprs: 16
; NumVgprs: 8
; ScratchSize: 0
; MemoryBound: 0
; FloatMode: 240
; IeeeMode: 1
; LDSByteSize: 10240 bytes/workgroup (compile time only)
; SGPRBlocks: 1
; VGPRBlocks: 0
; NumSGPRsForWavesPerEU: 16
; NumVGPRsForWavesPerEU: 8
; Occupancy: 16
; WaveLimiterHint : 0
; COMPUTE_PGM_RSRC2:SCRATCH_EN: 0
; COMPUTE_PGM_RSRC2:USER_SGPR: 15
; COMPUTE_PGM_RSRC2:TRAP_HANDLER: 0
; COMPUTE_PGM_RSRC2:TGID_X_EN: 1
; COMPUTE_PGM_RSRC2:TGID_Y_EN: 0
; COMPUTE_PGM_RSRC2:TGID_Z_EN: 0
; COMPUTE_PGM_RSRC2:TIDIG_COMP_CNT: 0
	.section	.text._Z25blocked_to_striped_kernelIxxLj1024ELj4EEvPT_PT0_,"axG",@progbits,_Z25blocked_to_striped_kernelIxxLj1024ELj4EEvPT_PT0_,comdat
	.protected	_Z25blocked_to_striped_kernelIxxLj1024ELj4EEvPT_PT0_ ; -- Begin function _Z25blocked_to_striped_kernelIxxLj1024ELj4EEvPT_PT0_
	.globl	_Z25blocked_to_striped_kernelIxxLj1024ELj4EEvPT_PT0_
	.p2align	8
	.type	_Z25blocked_to_striped_kernelIxxLj1024ELj4EEvPT_PT0_,@function
_Z25blocked_to_striped_kernelIxxLj1024ELj4EEvPT_PT0_: ; @_Z25blocked_to_striped_kernelIxxLj1024ELj4EEvPT_PT0_
; %bb.0:
	s_load_b128 s[0:3], s[0:1], 0x0
	s_mov_b32 s5, 0
	s_lshl_b32 s4, s15, 10
	v_lshlrev_b32_e32 v9, 5, v0
	s_lshl_b64 s[4:5], s[4:5], 3
	v_add_nc_u32_e32 v11, 0x100, v0
	v_or_b32_e32 v12, 0x200, v0
	v_add_nc_u32_e32 v13, 0x300, v0
	v_lshlrev_b32_e32 v10, 2, v0
	v_lshrrev_b32_e32 v14, 3, v0
	v_lshrrev_b32_e32 v15, 5, v0
	;; [unrolled: 1-line block ×5, first 2 shown]
	v_add_lshl_u32 v10, v14, v10, 3
	v_add_lshl_u32 v14, v15, v0, 3
	;; [unrolled: 1-line block ×5, first 2 shown]
	s_waitcnt lgkmcnt(0)
	s_add_u32 s0, s0, s4
	s_addc_u32 s1, s1, s5
	s_clause 0x1
	global_load_b128 v[1:4], v9, s[0:1]
	global_load_b128 v[5:8], v9, s[0:1] offset:16
	s_add_u32 s0, s2, s4
	s_addc_u32 s1, s3, s5
	s_waitcnt vmcnt(1)
	ds_store_2addr_b64 v10, v[1:2], v[3:4] offset1:1
	s_waitcnt vmcnt(0)
	ds_store_2addr_b64 v10, v[5:6], v[7:8] offset0:2 offset1:3
	s_waitcnt lgkmcnt(0)
	s_barrier
	buffer_gl0_inv
	ds_load_b64 v[0:1], v14
	ds_load_b64 v[2:3], v11 offset:2048
	ds_load_b64 v[4:5], v12 offset:4096
	;; [unrolled: 1-line block ×3, first 2 shown]
	s_waitcnt lgkmcnt(2)
	global_store_b128 v9, v[0:3], s[0:1]
	s_waitcnt lgkmcnt(0)
	global_store_b128 v9, v[4:7], s[0:1] offset:16
	s_nop 0
	s_sendmsg sendmsg(MSG_DEALLOC_VGPRS)
	s_endpgm
	.section	.rodata,"a",@progbits
	.p2align	6, 0x0
	.amdhsa_kernel _Z25blocked_to_striped_kernelIxxLj1024ELj4EEvPT_PT0_
		.amdhsa_group_segment_fixed_size 8448
		.amdhsa_private_segment_fixed_size 0
		.amdhsa_kernarg_size 16
		.amdhsa_user_sgpr_count 15
		.amdhsa_user_sgpr_dispatch_ptr 0
		.amdhsa_user_sgpr_queue_ptr 0
		.amdhsa_user_sgpr_kernarg_segment_ptr 1
		.amdhsa_user_sgpr_dispatch_id 0
		.amdhsa_user_sgpr_private_segment_size 0
		.amdhsa_wavefront_size32 1
		.amdhsa_uses_dynamic_stack 0
		.amdhsa_enable_private_segment 0
		.amdhsa_system_sgpr_workgroup_id_x 1
		.amdhsa_system_sgpr_workgroup_id_y 0
		.amdhsa_system_sgpr_workgroup_id_z 0
		.amdhsa_system_sgpr_workgroup_info 0
		.amdhsa_system_vgpr_workitem_id 0
		.amdhsa_next_free_vgpr 16
		.amdhsa_next_free_sgpr 16
		.amdhsa_reserve_vcc 0
		.amdhsa_float_round_mode_32 0
		.amdhsa_float_round_mode_16_64 0
		.amdhsa_float_denorm_mode_32 3
		.amdhsa_float_denorm_mode_16_64 3
		.amdhsa_dx10_clamp 1
		.amdhsa_ieee_mode 1
		.amdhsa_fp16_overflow 0
		.amdhsa_workgroup_processor_mode 1
		.amdhsa_memory_ordered 1
		.amdhsa_forward_progress 0
		.amdhsa_shared_vgpr_count 0
		.amdhsa_exception_fp_ieee_invalid_op 0
		.amdhsa_exception_fp_denorm_src 0
		.amdhsa_exception_fp_ieee_div_zero 0
		.amdhsa_exception_fp_ieee_overflow 0
		.amdhsa_exception_fp_ieee_underflow 0
		.amdhsa_exception_fp_ieee_inexact 0
		.amdhsa_exception_int_div_zero 0
	.end_amdhsa_kernel
	.section	.text._Z25blocked_to_striped_kernelIxxLj1024ELj4EEvPT_PT0_,"axG",@progbits,_Z25blocked_to_striped_kernelIxxLj1024ELj4EEvPT_PT0_,comdat
.Lfunc_end9:
	.size	_Z25blocked_to_striped_kernelIxxLj1024ELj4EEvPT_PT0_, .Lfunc_end9-_Z25blocked_to_striped_kernelIxxLj1024ELj4EEvPT_PT0_
                                        ; -- End function
	.section	.AMDGPU.csdata,"",@progbits
; Kernel info:
; codeLenInByte = 260
; NumSgprs: 16
; NumVgprs: 16
; ScratchSize: 0
; MemoryBound: 0
; FloatMode: 240
; IeeeMode: 1
; LDSByteSize: 8448 bytes/workgroup (compile time only)
; SGPRBlocks: 1
; VGPRBlocks: 1
; NumSGPRsForWavesPerEU: 16
; NumVGPRsForWavesPerEU: 16
; Occupancy: 16
; WaveLimiterHint : 0
; COMPUTE_PGM_RSRC2:SCRATCH_EN: 0
; COMPUTE_PGM_RSRC2:USER_SGPR: 15
; COMPUTE_PGM_RSRC2:TRAP_HANDLER: 0
; COMPUTE_PGM_RSRC2:TGID_X_EN: 1
; COMPUTE_PGM_RSRC2:TGID_Y_EN: 0
; COMPUTE_PGM_RSRC2:TGID_Z_EN: 0
; COMPUTE_PGM_RSRC2:TIDIG_COMP_CNT: 0
	.section	.text._Z25blocked_to_striped_kernelIiiLj128ELj2EEvPT_PT0_,"axG",@progbits,_Z25blocked_to_striped_kernelIiiLj128ELj2EEvPT_PT0_,comdat
	.protected	_Z25blocked_to_striped_kernelIiiLj128ELj2EEvPT_PT0_ ; -- Begin function _Z25blocked_to_striped_kernelIiiLj128ELj2EEvPT_PT0_
	.globl	_Z25blocked_to_striped_kernelIiiLj128ELj2EEvPT_PT0_
	.p2align	8
	.type	_Z25blocked_to_striped_kernelIiiLj128ELj2EEvPT_PT0_,@function
_Z25blocked_to_striped_kernelIiiLj128ELj2EEvPT_PT0_: ; @_Z25blocked_to_striped_kernelIiiLj128ELj2EEvPT_PT0_
; %bb.0:
	s_load_b128 s[0:3], s[0:1], 0x0
	s_mov_b32 s5, 0
	s_lshl_b32 s4, s15, 7
	v_lshlrev_b32_e32 v3, 3, v0
	s_lshl_b64 s[4:5], s[4:5], 2
	v_add_nc_u32_e32 v5, 64, v0
	v_lshlrev_b32_e32 v4, 1, v0
	v_lshrrev_b32_e32 v6, 4, v0
	v_lshrrev_b32_e32 v7, 5, v0
	s_delay_alu instid0(VALU_DEP_4) | instskip(NEXT) | instid1(VALU_DEP_3)
	v_lshrrev_b32_e32 v5, 5, v5
	v_add_lshl_u32 v4, v6, v4, 2
	s_delay_alu instid0(VALU_DEP_3) | instskip(NEXT) | instid1(VALU_DEP_3)
	v_add_lshl_u32 v6, v7, v0, 2
	v_add_lshl_u32 v5, v5, v0, 2
	s_waitcnt lgkmcnt(0)
	s_add_u32 s0, s0, s4
	s_addc_u32 s1, s1, s5
	global_load_b64 v[1:2], v3, s[0:1]
	s_add_u32 s0, s2, s4
	s_addc_u32 s1, s3, s5
	s_waitcnt vmcnt(0)
	ds_store_2addr_b32 v4, v1, v2 offset1:1
	s_waitcnt lgkmcnt(0)
	s_barrier
	buffer_gl0_inv
	ds_load_b32 v0, v6
	ds_load_b32 v1, v5 offset:256
	s_waitcnt lgkmcnt(0)
	global_store_b64 v3, v[0:1], s[0:1]
	s_nop 0
	s_sendmsg sendmsg(MSG_DEALLOC_VGPRS)
	s_endpgm
	.section	.rodata,"a",@progbits
	.p2align	6, 0x0
	.amdhsa_kernel _Z25blocked_to_striped_kernelIiiLj128ELj2EEvPT_PT0_
		.amdhsa_group_segment_fixed_size 528
		.amdhsa_private_segment_fixed_size 0
		.amdhsa_kernarg_size 16
		.amdhsa_user_sgpr_count 15
		.amdhsa_user_sgpr_dispatch_ptr 0
		.amdhsa_user_sgpr_queue_ptr 0
		.amdhsa_user_sgpr_kernarg_segment_ptr 1
		.amdhsa_user_sgpr_dispatch_id 0
		.amdhsa_user_sgpr_private_segment_size 0
		.amdhsa_wavefront_size32 1
		.amdhsa_uses_dynamic_stack 0
		.amdhsa_enable_private_segment 0
		.amdhsa_system_sgpr_workgroup_id_x 1
		.amdhsa_system_sgpr_workgroup_id_y 0
		.amdhsa_system_sgpr_workgroup_id_z 0
		.amdhsa_system_sgpr_workgroup_info 0
		.amdhsa_system_vgpr_workitem_id 0
		.amdhsa_next_free_vgpr 8
		.amdhsa_next_free_sgpr 16
		.amdhsa_reserve_vcc 0
		.amdhsa_float_round_mode_32 0
		.amdhsa_float_round_mode_16_64 0
		.amdhsa_float_denorm_mode_32 3
		.amdhsa_float_denorm_mode_16_64 3
		.amdhsa_dx10_clamp 1
		.amdhsa_ieee_mode 1
		.amdhsa_fp16_overflow 0
		.amdhsa_workgroup_processor_mode 1
		.amdhsa_memory_ordered 1
		.amdhsa_forward_progress 0
		.amdhsa_shared_vgpr_count 0
		.amdhsa_exception_fp_ieee_invalid_op 0
		.amdhsa_exception_fp_denorm_src 0
		.amdhsa_exception_fp_ieee_div_zero 0
		.amdhsa_exception_fp_ieee_overflow 0
		.amdhsa_exception_fp_ieee_underflow 0
		.amdhsa_exception_fp_ieee_inexact 0
		.amdhsa_exception_int_div_zero 0
	.end_amdhsa_kernel
	.section	.text._Z25blocked_to_striped_kernelIiiLj128ELj2EEvPT_PT0_,"axG",@progbits,_Z25blocked_to_striped_kernelIiiLj128ELj2EEvPT_PT0_,comdat
.Lfunc_end10:
	.size	_Z25blocked_to_striped_kernelIiiLj128ELj2EEvPT_PT0_, .Lfunc_end10-_Z25blocked_to_striped_kernelIiiLj128ELj2EEvPT_PT0_
                                        ; -- End function
	.section	.AMDGPU.csdata,"",@progbits
; Kernel info:
; codeLenInByte = 172
; NumSgprs: 16
; NumVgprs: 8
; ScratchSize: 0
; MemoryBound: 0
; FloatMode: 240
; IeeeMode: 1
; LDSByteSize: 528 bytes/workgroup (compile time only)
; SGPRBlocks: 1
; VGPRBlocks: 0
; NumSGPRsForWavesPerEU: 16
; NumVGPRsForWavesPerEU: 8
; Occupancy: 16
; WaveLimiterHint : 0
; COMPUTE_PGM_RSRC2:SCRATCH_EN: 0
; COMPUTE_PGM_RSRC2:USER_SGPR: 15
; COMPUTE_PGM_RSRC2:TRAP_HANDLER: 0
; COMPUTE_PGM_RSRC2:TGID_X_EN: 1
; COMPUTE_PGM_RSRC2:TGID_Y_EN: 0
; COMPUTE_PGM_RSRC2:TGID_Z_EN: 0
; COMPUTE_PGM_RSRC2:TIDIG_COMP_CNT: 0
	.section	.text._Z25blocked_to_striped_kernelIxxLj512ELj1EEvPT_PT0_,"axG",@progbits,_Z25blocked_to_striped_kernelIxxLj512ELj1EEvPT_PT0_,comdat
	.protected	_Z25blocked_to_striped_kernelIxxLj512ELj1EEvPT_PT0_ ; -- Begin function _Z25blocked_to_striped_kernelIxxLj512ELj1EEvPT_PT0_
	.globl	_Z25blocked_to_striped_kernelIxxLj512ELj1EEvPT_PT0_
	.p2align	8
	.type	_Z25blocked_to_striped_kernelIxxLj512ELj1EEvPT_PT0_,@function
_Z25blocked_to_striped_kernelIxxLj512ELj1EEvPT_PT0_: ; @_Z25blocked_to_striped_kernelIxxLj512ELj1EEvPT_PT0_
; %bb.0:
	s_load_b128 s[0:3], s[0:1], 0x0
	s_mov_b32 s5, 0
	s_lshl_b32 s4, s15, 9
	v_lshlrev_b32_e32 v2, 3, v0
	s_lshl_b64 s[4:5], s[4:5], 3
	s_waitcnt lgkmcnt(0)
	s_add_u32 s0, s0, s4
	s_addc_u32 s1, s1, s5
	global_load_b64 v[0:1], v2, s[0:1]
	s_add_u32 s0, s2, s4
	s_addc_u32 s1, s3, s5
	s_waitcnt vmcnt(0)
	ds_store_b64 v2, v[0:1]
	s_waitcnt lgkmcnt(0)
	s_barrier
	buffer_gl0_inv
	ds_load_b64 v[0:1], v2
	s_waitcnt lgkmcnt(0)
	global_store_b64 v2, v[0:1], s[0:1]
	s_nop 0
	s_sendmsg sendmsg(MSG_DEALLOC_VGPRS)
	s_endpgm
	.section	.rodata,"a",@progbits
	.p2align	6, 0x0
	.amdhsa_kernel _Z25blocked_to_striped_kernelIxxLj512ELj1EEvPT_PT0_
		.amdhsa_group_segment_fixed_size 4096
		.amdhsa_private_segment_fixed_size 0
		.amdhsa_kernarg_size 16
		.amdhsa_user_sgpr_count 15
		.amdhsa_user_sgpr_dispatch_ptr 0
		.amdhsa_user_sgpr_queue_ptr 0
		.amdhsa_user_sgpr_kernarg_segment_ptr 1
		.amdhsa_user_sgpr_dispatch_id 0
		.amdhsa_user_sgpr_private_segment_size 0
		.amdhsa_wavefront_size32 1
		.amdhsa_uses_dynamic_stack 0
		.amdhsa_enable_private_segment 0
		.amdhsa_system_sgpr_workgroup_id_x 1
		.amdhsa_system_sgpr_workgroup_id_y 0
		.amdhsa_system_sgpr_workgroup_id_z 0
		.amdhsa_system_sgpr_workgroup_info 0
		.amdhsa_system_vgpr_workitem_id 0
		.amdhsa_next_free_vgpr 3
		.amdhsa_next_free_sgpr 16
		.amdhsa_reserve_vcc 0
		.amdhsa_float_round_mode_32 0
		.amdhsa_float_round_mode_16_64 0
		.amdhsa_float_denorm_mode_32 3
		.amdhsa_float_denorm_mode_16_64 3
		.amdhsa_dx10_clamp 1
		.amdhsa_ieee_mode 1
		.amdhsa_fp16_overflow 0
		.amdhsa_workgroup_processor_mode 1
		.amdhsa_memory_ordered 1
		.amdhsa_forward_progress 0
		.amdhsa_shared_vgpr_count 0
		.amdhsa_exception_fp_ieee_invalid_op 0
		.amdhsa_exception_fp_denorm_src 0
		.amdhsa_exception_fp_ieee_div_zero 0
		.amdhsa_exception_fp_ieee_overflow 0
		.amdhsa_exception_fp_ieee_underflow 0
		.amdhsa_exception_fp_ieee_inexact 0
		.amdhsa_exception_int_div_zero 0
	.end_amdhsa_kernel
	.section	.text._Z25blocked_to_striped_kernelIxxLj512ELj1EEvPT_PT0_,"axG",@progbits,_Z25blocked_to_striped_kernelIxxLj512ELj1EEvPT_PT0_,comdat
.Lfunc_end11:
	.size	_Z25blocked_to_striped_kernelIxxLj512ELj1EEvPT_PT0_, .Lfunc_end11-_Z25blocked_to_striped_kernelIxxLj512ELj1EEvPT_PT0_
                                        ; -- End function
	.section	.AMDGPU.csdata,"",@progbits
; Kernel info:
; codeLenInByte = 112
; NumSgprs: 16
; NumVgprs: 3
; ScratchSize: 0
; MemoryBound: 0
; FloatMode: 240
; IeeeMode: 1
; LDSByteSize: 4096 bytes/workgroup (compile time only)
; SGPRBlocks: 1
; VGPRBlocks: 0
; NumSGPRsForWavesPerEU: 16
; NumVGPRsForWavesPerEU: 3
; Occupancy: 16
; WaveLimiterHint : 0
; COMPUTE_PGM_RSRC2:SCRATCH_EN: 0
; COMPUTE_PGM_RSRC2:USER_SGPR: 15
; COMPUTE_PGM_RSRC2:TRAP_HANDLER: 0
; COMPUTE_PGM_RSRC2:TGID_X_EN: 1
; COMPUTE_PGM_RSRC2:TGID_Y_EN: 0
; COMPUTE_PGM_RSRC2:TGID_Z_EN: 0
; COMPUTE_PGM_RSRC2:TIDIG_COMP_CNT: 0
	.section	.text._Z25blocked_to_striped_kernelIs5dummyIiELj256ELj1EEvPT_PT0_,"axG",@progbits,_Z25blocked_to_striped_kernelIs5dummyIiELj256ELj1EEvPT_PT0_,comdat
	.protected	_Z25blocked_to_striped_kernelIs5dummyIiELj256ELj1EEvPT_PT0_ ; -- Begin function _Z25blocked_to_striped_kernelIs5dummyIiELj256ELj1EEvPT_PT0_
	.globl	_Z25blocked_to_striped_kernelIs5dummyIiELj256ELj1EEvPT_PT0_
	.p2align	8
	.type	_Z25blocked_to_striped_kernelIs5dummyIiELj256ELj1EEvPT_PT0_,@function
_Z25blocked_to_striped_kernelIs5dummyIiELj256ELj1EEvPT_PT0_: ; @_Z25blocked_to_striped_kernelIs5dummyIiELj256ELj1EEvPT_PT0_
; %bb.0:
	s_load_b128 s[0:3], s[0:1], 0x0
	s_mov_b32 s5, 0
	s_lshl_b32 s4, s15, 8
	v_lshlrev_b32_e32 v1, 1, v0
	s_lshl_b64 s[6:7], s[4:5], 1
	v_lshlrev_b32_e32 v0, 3, v0
	s_waitcnt lgkmcnt(0)
	s_add_u32 s0, s0, s6
	s_addc_u32 s1, s1, s7
	global_load_u16 v2, v1, s[0:1]
	s_lshl_b64 s[0:1], s[4:5], 3
	s_delay_alu instid0(SALU_CYCLE_1)
	s_add_u32 s0, s2, s0
	s_addc_u32 s1, s3, s1
	s_waitcnt vmcnt(0)
	ds_store_b16 v1, v2
	s_waitcnt lgkmcnt(0)
	s_barrier
	buffer_gl0_inv
	ds_load_i16 v1, v1
	s_waitcnt lgkmcnt(0)
	v_lshlrev_b32_e32 v2, 1, v1
	v_add_nc_u32_e32 v1, 1, v1
	global_store_b64 v0, v[1:2], s[0:1]
	s_nop 0
	s_sendmsg sendmsg(MSG_DEALLOC_VGPRS)
	s_endpgm
	.section	.rodata,"a",@progbits
	.p2align	6, 0x0
	.amdhsa_kernel _Z25blocked_to_striped_kernelIs5dummyIiELj256ELj1EEvPT_PT0_
		.amdhsa_group_segment_fixed_size 512
		.amdhsa_private_segment_fixed_size 0
		.amdhsa_kernarg_size 16
		.amdhsa_user_sgpr_count 15
		.amdhsa_user_sgpr_dispatch_ptr 0
		.amdhsa_user_sgpr_queue_ptr 0
		.amdhsa_user_sgpr_kernarg_segment_ptr 1
		.amdhsa_user_sgpr_dispatch_id 0
		.amdhsa_user_sgpr_private_segment_size 0
		.amdhsa_wavefront_size32 1
		.amdhsa_uses_dynamic_stack 0
		.amdhsa_enable_private_segment 0
		.amdhsa_system_sgpr_workgroup_id_x 1
		.amdhsa_system_sgpr_workgroup_id_y 0
		.amdhsa_system_sgpr_workgroup_id_z 0
		.amdhsa_system_sgpr_workgroup_info 0
		.amdhsa_system_vgpr_workitem_id 0
		.amdhsa_next_free_vgpr 3
		.amdhsa_next_free_sgpr 16
		.amdhsa_reserve_vcc 0
		.amdhsa_float_round_mode_32 0
		.amdhsa_float_round_mode_16_64 0
		.amdhsa_float_denorm_mode_32 3
		.amdhsa_float_denorm_mode_16_64 3
		.amdhsa_dx10_clamp 1
		.amdhsa_ieee_mode 1
		.amdhsa_fp16_overflow 0
		.amdhsa_workgroup_processor_mode 1
		.amdhsa_memory_ordered 1
		.amdhsa_forward_progress 0
		.amdhsa_shared_vgpr_count 0
		.amdhsa_exception_fp_ieee_invalid_op 0
		.amdhsa_exception_fp_denorm_src 0
		.amdhsa_exception_fp_ieee_div_zero 0
		.amdhsa_exception_fp_ieee_overflow 0
		.amdhsa_exception_fp_ieee_underflow 0
		.amdhsa_exception_fp_ieee_inexact 0
		.amdhsa_exception_int_div_zero 0
	.end_amdhsa_kernel
	.section	.text._Z25blocked_to_striped_kernelIs5dummyIiELj256ELj1EEvPT_PT0_,"axG",@progbits,_Z25blocked_to_striped_kernelIs5dummyIiELj256ELj1EEvPT_PT0_,comdat
.Lfunc_end12:
	.size	_Z25blocked_to_striped_kernelIs5dummyIiELj256ELj1EEvPT_PT0_, .Lfunc_end12-_Z25blocked_to_striped_kernelIs5dummyIiELj256ELj1EEvPT_PT0_
                                        ; -- End function
	.section	.AMDGPU.csdata,"",@progbits
; Kernel info:
; codeLenInByte = 132
; NumSgprs: 16
; NumVgprs: 3
; ScratchSize: 0
; MemoryBound: 0
; FloatMode: 240
; IeeeMode: 1
; LDSByteSize: 512 bytes/workgroup (compile time only)
; SGPRBlocks: 1
; VGPRBlocks: 0
; NumSGPRsForWavesPerEU: 16
; NumVGPRsForWavesPerEU: 3
; Occupancy: 16
; WaveLimiterHint : 0
; COMPUTE_PGM_RSRC2:SCRATCH_EN: 0
; COMPUTE_PGM_RSRC2:USER_SGPR: 15
; COMPUTE_PGM_RSRC2:TRAP_HANDLER: 0
; COMPUTE_PGM_RSRC2:TGID_X_EN: 1
; COMPUTE_PGM_RSRC2:TGID_Y_EN: 0
; COMPUTE_PGM_RSRC2:TGID_Z_EN: 0
; COMPUTE_PGM_RSRC2:TIDIG_COMP_CNT: 0
	.section	.text._Z25blocked_to_striped_kernelIyyLj128ELj1EEvPT_PT0_,"axG",@progbits,_Z25blocked_to_striped_kernelIyyLj128ELj1EEvPT_PT0_,comdat
	.protected	_Z25blocked_to_striped_kernelIyyLj128ELj1EEvPT_PT0_ ; -- Begin function _Z25blocked_to_striped_kernelIyyLj128ELj1EEvPT_PT0_
	.globl	_Z25blocked_to_striped_kernelIyyLj128ELj1EEvPT_PT0_
	.p2align	8
	.type	_Z25blocked_to_striped_kernelIyyLj128ELj1EEvPT_PT0_,@function
_Z25blocked_to_striped_kernelIyyLj128ELj1EEvPT_PT0_: ; @_Z25blocked_to_striped_kernelIyyLj128ELj1EEvPT_PT0_
; %bb.0:
	s_load_b128 s[0:3], s[0:1], 0x0
	s_mov_b32 s5, 0
	s_lshl_b32 s4, s15, 7
	v_lshlrev_b32_e32 v2, 3, v0
	s_lshl_b64 s[4:5], s[4:5], 3
	s_waitcnt lgkmcnt(0)
	s_add_u32 s0, s0, s4
	s_addc_u32 s1, s1, s5
	global_load_b64 v[0:1], v2, s[0:1]
	s_add_u32 s0, s2, s4
	s_addc_u32 s1, s3, s5
	s_waitcnt vmcnt(0)
	ds_store_b64 v2, v[0:1]
	s_waitcnt lgkmcnt(0)
	s_barrier
	buffer_gl0_inv
	ds_load_b64 v[0:1], v2
	s_waitcnt lgkmcnt(0)
	global_store_b64 v2, v[0:1], s[0:1]
	s_nop 0
	s_sendmsg sendmsg(MSG_DEALLOC_VGPRS)
	s_endpgm
	.section	.rodata,"a",@progbits
	.p2align	6, 0x0
	.amdhsa_kernel _Z25blocked_to_striped_kernelIyyLj128ELj1EEvPT_PT0_
		.amdhsa_group_segment_fixed_size 1024
		.amdhsa_private_segment_fixed_size 0
		.amdhsa_kernarg_size 16
		.amdhsa_user_sgpr_count 15
		.amdhsa_user_sgpr_dispatch_ptr 0
		.amdhsa_user_sgpr_queue_ptr 0
		.amdhsa_user_sgpr_kernarg_segment_ptr 1
		.amdhsa_user_sgpr_dispatch_id 0
		.amdhsa_user_sgpr_private_segment_size 0
		.amdhsa_wavefront_size32 1
		.amdhsa_uses_dynamic_stack 0
		.amdhsa_enable_private_segment 0
		.amdhsa_system_sgpr_workgroup_id_x 1
		.amdhsa_system_sgpr_workgroup_id_y 0
		.amdhsa_system_sgpr_workgroup_id_z 0
		.amdhsa_system_sgpr_workgroup_info 0
		.amdhsa_system_vgpr_workitem_id 0
		.amdhsa_next_free_vgpr 3
		.amdhsa_next_free_sgpr 16
		.amdhsa_reserve_vcc 0
		.amdhsa_float_round_mode_32 0
		.amdhsa_float_round_mode_16_64 0
		.amdhsa_float_denorm_mode_32 3
		.amdhsa_float_denorm_mode_16_64 3
		.amdhsa_dx10_clamp 1
		.amdhsa_ieee_mode 1
		.amdhsa_fp16_overflow 0
		.amdhsa_workgroup_processor_mode 1
		.amdhsa_memory_ordered 1
		.amdhsa_forward_progress 0
		.amdhsa_shared_vgpr_count 0
		.amdhsa_exception_fp_ieee_invalid_op 0
		.amdhsa_exception_fp_denorm_src 0
		.amdhsa_exception_fp_ieee_div_zero 0
		.amdhsa_exception_fp_ieee_overflow 0
		.amdhsa_exception_fp_ieee_underflow 0
		.amdhsa_exception_fp_ieee_inexact 0
		.amdhsa_exception_int_div_zero 0
	.end_amdhsa_kernel
	.section	.text._Z25blocked_to_striped_kernelIyyLj128ELj1EEvPT_PT0_,"axG",@progbits,_Z25blocked_to_striped_kernelIyyLj128ELj1EEvPT_PT0_,comdat
.Lfunc_end13:
	.size	_Z25blocked_to_striped_kernelIyyLj128ELj1EEvPT_PT0_, .Lfunc_end13-_Z25blocked_to_striped_kernelIyyLj128ELj1EEvPT_PT0_
                                        ; -- End function
	.section	.AMDGPU.csdata,"",@progbits
; Kernel info:
; codeLenInByte = 112
; NumSgprs: 16
; NumVgprs: 3
; ScratchSize: 0
; MemoryBound: 0
; FloatMode: 240
; IeeeMode: 1
; LDSByteSize: 1024 bytes/workgroup (compile time only)
; SGPRBlocks: 1
; VGPRBlocks: 0
; NumSGPRsForWavesPerEU: 16
; NumVGPRsForWavesPerEU: 3
; Occupancy: 16
; WaveLimiterHint : 0
; COMPUTE_PGM_RSRC2:SCRATCH_EN: 0
; COMPUTE_PGM_RSRC2:USER_SGPR: 15
; COMPUTE_PGM_RSRC2:TRAP_HANDLER: 0
; COMPUTE_PGM_RSRC2:TGID_X_EN: 1
; COMPUTE_PGM_RSRC2:TGID_Y_EN: 0
; COMPUTE_PGM_RSRC2:TGID_Z_EN: 0
; COMPUTE_PGM_RSRC2:TIDIG_COMP_CNT: 0
	.section	.text._Z25blocked_to_striped_kernelIixLj64ELj1EEvPT_PT0_,"axG",@progbits,_Z25blocked_to_striped_kernelIixLj64ELj1EEvPT_PT0_,comdat
	.protected	_Z25blocked_to_striped_kernelIixLj64ELj1EEvPT_PT0_ ; -- Begin function _Z25blocked_to_striped_kernelIixLj64ELj1EEvPT_PT0_
	.globl	_Z25blocked_to_striped_kernelIixLj64ELj1EEvPT_PT0_
	.p2align	8
	.type	_Z25blocked_to_striped_kernelIixLj64ELj1EEvPT_PT0_,@function
_Z25blocked_to_striped_kernelIixLj64ELj1EEvPT_PT0_: ; @_Z25blocked_to_striped_kernelIixLj64ELj1EEvPT_PT0_
; %bb.0:
	s_load_b128 s[0:3], s[0:1], 0x0
	s_mov_b32 s5, 0
	s_lshl_b32 s4, s15, 6
	v_lshlrev_b32_e32 v1, 2, v0
	s_lshl_b64 s[6:7], s[4:5], 2
	v_lshlrev_b32_e32 v0, 3, v0
	s_waitcnt lgkmcnt(0)
	s_add_u32 s0, s0, s6
	s_addc_u32 s1, s1, s7
	global_load_b32 v2, v1, s[0:1]
	s_lshl_b64 s[0:1], s[4:5], 3
	s_delay_alu instid0(SALU_CYCLE_1)
	s_add_u32 s0, s2, s0
	s_addc_u32 s1, s3, s1
	s_waitcnt vmcnt(0)
	ds_store_b32 v1, v2
	s_waitcnt lgkmcnt(0)
	s_barrier
	buffer_gl0_inv
	ds_load_b32 v1, v1
	s_waitcnt lgkmcnt(0)
	v_ashrrev_i32_e32 v2, 31, v1
	global_store_b64 v0, v[1:2], s[0:1]
	s_nop 0
	s_sendmsg sendmsg(MSG_DEALLOC_VGPRS)
	s_endpgm
	.section	.rodata,"a",@progbits
	.p2align	6, 0x0
	.amdhsa_kernel _Z25blocked_to_striped_kernelIixLj64ELj1EEvPT_PT0_
		.amdhsa_group_segment_fixed_size 256
		.amdhsa_private_segment_fixed_size 0
		.amdhsa_kernarg_size 16
		.amdhsa_user_sgpr_count 15
		.amdhsa_user_sgpr_dispatch_ptr 0
		.amdhsa_user_sgpr_queue_ptr 0
		.amdhsa_user_sgpr_kernarg_segment_ptr 1
		.amdhsa_user_sgpr_dispatch_id 0
		.amdhsa_user_sgpr_private_segment_size 0
		.amdhsa_wavefront_size32 1
		.amdhsa_uses_dynamic_stack 0
		.amdhsa_enable_private_segment 0
		.amdhsa_system_sgpr_workgroup_id_x 1
		.amdhsa_system_sgpr_workgroup_id_y 0
		.amdhsa_system_sgpr_workgroup_id_z 0
		.amdhsa_system_sgpr_workgroup_info 0
		.amdhsa_system_vgpr_workitem_id 0
		.amdhsa_next_free_vgpr 3
		.amdhsa_next_free_sgpr 16
		.amdhsa_reserve_vcc 0
		.amdhsa_float_round_mode_32 0
		.amdhsa_float_round_mode_16_64 0
		.amdhsa_float_denorm_mode_32 3
		.amdhsa_float_denorm_mode_16_64 3
		.amdhsa_dx10_clamp 1
		.amdhsa_ieee_mode 1
		.amdhsa_fp16_overflow 0
		.amdhsa_workgroup_processor_mode 1
		.amdhsa_memory_ordered 1
		.amdhsa_forward_progress 0
		.amdhsa_shared_vgpr_count 0
		.amdhsa_exception_fp_ieee_invalid_op 0
		.amdhsa_exception_fp_denorm_src 0
		.amdhsa_exception_fp_ieee_div_zero 0
		.amdhsa_exception_fp_ieee_overflow 0
		.amdhsa_exception_fp_ieee_underflow 0
		.amdhsa_exception_fp_ieee_inexact 0
		.amdhsa_exception_int_div_zero 0
	.end_amdhsa_kernel
	.section	.text._Z25blocked_to_striped_kernelIixLj64ELj1EEvPT_PT0_,"axG",@progbits,_Z25blocked_to_striped_kernelIixLj64ELj1EEvPT_PT0_,comdat
.Lfunc_end14:
	.size	_Z25blocked_to_striped_kernelIixLj64ELj1EEvPT_PT0_, .Lfunc_end14-_Z25blocked_to_striped_kernelIixLj64ELj1EEvPT_PT0_
                                        ; -- End function
	.section	.AMDGPU.csdata,"",@progbits
; Kernel info:
; codeLenInByte = 128
; NumSgprs: 16
; NumVgprs: 3
; ScratchSize: 0
; MemoryBound: 0
; FloatMode: 240
; IeeeMode: 1
; LDSByteSize: 256 bytes/workgroup (compile time only)
; SGPRBlocks: 1
; VGPRBlocks: 0
; NumSGPRsForWavesPerEU: 16
; NumVGPRsForWavesPerEU: 3
; Occupancy: 16
; WaveLimiterHint : 0
; COMPUTE_PGM_RSRC2:SCRATCH_EN: 0
; COMPUTE_PGM_RSRC2:USER_SGPR: 15
; COMPUTE_PGM_RSRC2:TRAP_HANDLER: 0
; COMPUTE_PGM_RSRC2:TGID_X_EN: 1
; COMPUTE_PGM_RSRC2:TGID_Y_EN: 0
; COMPUTE_PGM_RSRC2:TGID_Z_EN: 0
; COMPUTE_PGM_RSRC2:TIDIG_COMP_CNT: 0
	.section	.text._Z25blocked_to_striped_kernelI6__halfS0_Lj512ELj4EEvPT_PT0_,"axG",@progbits,_Z25blocked_to_striped_kernelI6__halfS0_Lj512ELj4EEvPT_PT0_,comdat
	.protected	_Z25blocked_to_striped_kernelI6__halfS0_Lj512ELj4EEvPT_PT0_ ; -- Begin function _Z25blocked_to_striped_kernelI6__halfS0_Lj512ELj4EEvPT_PT0_
	.globl	_Z25blocked_to_striped_kernelI6__halfS0_Lj512ELj4EEvPT_PT0_
	.p2align	8
	.type	_Z25blocked_to_striped_kernelI6__halfS0_Lj512ELj4EEvPT_PT0_,@function
_Z25blocked_to_striped_kernelI6__halfS0_Lj512ELj4EEvPT_PT0_: ; @_Z25blocked_to_striped_kernelI6__halfS0_Lj512ELj4EEvPT_PT0_
; %bb.0:
	s_load_b128 s[0:3], s[0:1], 0x0
	s_mov_b32 s5, 0
	s_lshl_b32 s4, s15, 9
	v_lshlrev_b32_e32 v3, 3, v0
	s_lshl_b64 s[4:5], s[4:5], 1
	v_add_nc_u32_e32 v4, 0x100, v0
	v_lshrrev_b32_e32 v5, 3, v0
	v_lshrrev_b32_e32 v7, 5, v0
	v_lshlrev_b32_e32 v6, 2, v0
	v_add_nc_u32_e32 v8, 0x180, v0
	v_lshrrev_b32_e32 v4, 5, v4
	v_and_b32_e32 v5, 62, v5
	v_and_b32_e32 v7, 14, v7
	s_delay_alu instid0(VALU_DEP_3) | instskip(NEXT) | instid1(VALU_DEP_3)
	v_and_b32_e32 v4, 30, v4
	v_add_lshl_u32 v5, v5, v6, 1
	s_delay_alu instid0(VALU_DEP_3) | instskip(SKIP_1) | instid1(VALU_DEP_4)
	v_add_lshl_u32 v7, v7, v0, 1
	v_add_nc_u32_e32 v6, 0x80, v0
	v_add_lshl_u32 v4, v4, v0, 1
	s_waitcnt lgkmcnt(0)
	s_add_u32 s0, s0, s4
	s_addc_u32 s1, s1, s5
	global_load_b64 v[1:2], v3, s[0:1]
	s_add_u32 s0, s2, s4
	s_addc_u32 s1, s3, s5
	s_waitcnt vmcnt(0)
	ds_store_b64 v5, v[1:2]
	s_waitcnt lgkmcnt(0)
	s_barrier
	buffer_gl0_inv
	ds_load_u16 v1, v7
	ds_load_u16 v2, v4 offset:512
	v_lshrrev_b32_e32 v4, 5, v6
	v_lshrrev_b32_e32 v5, 5, v8
	s_delay_alu instid0(VALU_DEP_2) | instskip(NEXT) | instid1(VALU_DEP_2)
	v_and_b32_e32 v4, 30, v4
	v_and_b32_e32 v5, 30, v5
	s_delay_alu instid0(VALU_DEP_2) | instskip(NEXT) | instid1(VALU_DEP_2)
	v_add_lshl_u32 v4, v4, v0, 1
	v_add_lshl_u32 v0, v5, v0, 1
	s_waitcnt lgkmcnt(1)
	ds_load_u16_d16_hi v1, v4 offset:256
	s_waitcnt lgkmcnt(1)
	ds_load_u16_d16_hi v2, v0 offset:768
	s_waitcnt lgkmcnt(0)
	global_store_b64 v3, v[1:2], s[0:1]
	s_nop 0
	s_sendmsg sendmsg(MSG_DEALLOC_VGPRS)
	s_endpgm
	.section	.rodata,"a",@progbits
	.p2align	6, 0x0
	.amdhsa_kernel _Z25blocked_to_striped_kernelI6__halfS0_Lj512ELj4EEvPT_PT0_
		.amdhsa_group_segment_fixed_size 1056
		.amdhsa_private_segment_fixed_size 0
		.amdhsa_kernarg_size 16
		.amdhsa_user_sgpr_count 15
		.amdhsa_user_sgpr_dispatch_ptr 0
		.amdhsa_user_sgpr_queue_ptr 0
		.amdhsa_user_sgpr_kernarg_segment_ptr 1
		.amdhsa_user_sgpr_dispatch_id 0
		.amdhsa_user_sgpr_private_segment_size 0
		.amdhsa_wavefront_size32 1
		.amdhsa_uses_dynamic_stack 0
		.amdhsa_enable_private_segment 0
		.amdhsa_system_sgpr_workgroup_id_x 1
		.amdhsa_system_sgpr_workgroup_id_y 0
		.amdhsa_system_sgpr_workgroup_id_z 0
		.amdhsa_system_sgpr_workgroup_info 0
		.amdhsa_system_vgpr_workitem_id 0
		.amdhsa_next_free_vgpr 9
		.amdhsa_next_free_sgpr 16
		.amdhsa_reserve_vcc 0
		.amdhsa_float_round_mode_32 0
		.amdhsa_float_round_mode_16_64 0
		.amdhsa_float_denorm_mode_32 3
		.amdhsa_float_denorm_mode_16_64 3
		.amdhsa_dx10_clamp 1
		.amdhsa_ieee_mode 1
		.amdhsa_fp16_overflow 0
		.amdhsa_workgroup_processor_mode 1
		.amdhsa_memory_ordered 1
		.amdhsa_forward_progress 0
		.amdhsa_shared_vgpr_count 0
		.amdhsa_exception_fp_ieee_invalid_op 0
		.amdhsa_exception_fp_denorm_src 0
		.amdhsa_exception_fp_ieee_div_zero 0
		.amdhsa_exception_fp_ieee_overflow 0
		.amdhsa_exception_fp_ieee_underflow 0
		.amdhsa_exception_fp_ieee_inexact 0
		.amdhsa_exception_int_div_zero 0
	.end_amdhsa_kernel
	.section	.text._Z25blocked_to_striped_kernelI6__halfS0_Lj512ELj4EEvPT_PT0_,"axG",@progbits,_Z25blocked_to_striped_kernelI6__halfS0_Lj512ELj4EEvPT_PT0_,comdat
.Lfunc_end15:
	.size	_Z25blocked_to_striped_kernelI6__halfS0_Lj512ELj4EEvPT_PT0_, .Lfunc_end15-_Z25blocked_to_striped_kernelI6__halfS0_Lj512ELj4EEvPT_PT0_
                                        ; -- End function
	.section	.AMDGPU.csdata,"",@progbits
; Kernel info:
; codeLenInByte = 268
; NumSgprs: 16
; NumVgprs: 9
; ScratchSize: 0
; MemoryBound: 0
; FloatMode: 240
; IeeeMode: 1
; LDSByteSize: 1056 bytes/workgroup (compile time only)
; SGPRBlocks: 1
; VGPRBlocks: 1
; NumSGPRsForWavesPerEU: 16
; NumVGPRsForWavesPerEU: 9
; Occupancy: 16
; WaveLimiterHint : 0
; COMPUTE_PGM_RSRC2:SCRATCH_EN: 0
; COMPUTE_PGM_RSRC2:USER_SGPR: 15
; COMPUTE_PGM_RSRC2:TRAP_HANDLER: 0
; COMPUTE_PGM_RSRC2:TGID_X_EN: 1
; COMPUTE_PGM_RSRC2:TGID_Y_EN: 0
; COMPUTE_PGM_RSRC2:TGID_Z_EN: 0
; COMPUTE_PGM_RSRC2:TIDIG_COMP_CNT: 0
	.section	.text._Z25blocked_to_striped_kernelI12hip_bfloat16S0_Lj512ELj4EEvPT_PT0_,"axG",@progbits,_Z25blocked_to_striped_kernelI12hip_bfloat16S0_Lj512ELj4EEvPT_PT0_,comdat
	.protected	_Z25blocked_to_striped_kernelI12hip_bfloat16S0_Lj512ELj4EEvPT_PT0_ ; -- Begin function _Z25blocked_to_striped_kernelI12hip_bfloat16S0_Lj512ELj4EEvPT_PT0_
	.globl	_Z25blocked_to_striped_kernelI12hip_bfloat16S0_Lj512ELj4EEvPT_PT0_
	.p2align	8
	.type	_Z25blocked_to_striped_kernelI12hip_bfloat16S0_Lj512ELj4EEvPT_PT0_,@function
_Z25blocked_to_striped_kernelI12hip_bfloat16S0_Lj512ELj4EEvPT_PT0_: ; @_Z25blocked_to_striped_kernelI12hip_bfloat16S0_Lj512ELj4EEvPT_PT0_
; %bb.0:
	s_load_b128 s[0:3], s[0:1], 0x0
	s_mov_b32 s5, 0
	s_lshl_b32 s4, s15, 9
	v_lshlrev_b32_e32 v3, 3, v0
	s_lshl_b64 s[4:5], s[4:5], 1
	v_add_nc_u32_e32 v4, 0x100, v0
	v_lshrrev_b32_e32 v5, 3, v0
	v_lshrrev_b32_e32 v7, 5, v0
	v_lshlrev_b32_e32 v6, 2, v0
	v_add_nc_u32_e32 v8, 0x180, v0
	v_lshrrev_b32_e32 v4, 5, v4
	v_and_b32_e32 v5, 62, v5
	v_and_b32_e32 v7, 14, v7
	s_delay_alu instid0(VALU_DEP_3) | instskip(NEXT) | instid1(VALU_DEP_3)
	v_and_b32_e32 v4, 30, v4
	v_add_lshl_u32 v5, v5, v6, 1
	s_delay_alu instid0(VALU_DEP_3) | instskip(SKIP_1) | instid1(VALU_DEP_4)
	v_add_lshl_u32 v7, v7, v0, 1
	v_add_nc_u32_e32 v6, 0x80, v0
	v_add_lshl_u32 v4, v4, v0, 1
	s_waitcnt lgkmcnt(0)
	s_add_u32 s0, s0, s4
	s_addc_u32 s1, s1, s5
	global_load_b64 v[1:2], v3, s[0:1]
	s_add_u32 s0, s2, s4
	s_addc_u32 s1, s3, s5
	s_waitcnt vmcnt(0)
	ds_store_b64 v5, v[1:2]
	s_waitcnt lgkmcnt(0)
	s_barrier
	buffer_gl0_inv
	ds_load_u16 v1, v7
	ds_load_u16 v2, v4 offset:512
	v_lshrrev_b32_e32 v4, 5, v6
	v_lshrrev_b32_e32 v5, 5, v8
	s_delay_alu instid0(VALU_DEP_2) | instskip(NEXT) | instid1(VALU_DEP_2)
	v_and_b32_e32 v4, 30, v4
	v_and_b32_e32 v5, 30, v5
	s_delay_alu instid0(VALU_DEP_2) | instskip(NEXT) | instid1(VALU_DEP_2)
	v_add_lshl_u32 v4, v4, v0, 1
	v_add_lshl_u32 v0, v5, v0, 1
	s_waitcnt lgkmcnt(1)
	ds_load_u16_d16_hi v1, v4 offset:256
	s_waitcnt lgkmcnt(1)
	ds_load_u16_d16_hi v2, v0 offset:768
	s_waitcnt lgkmcnt(0)
	global_store_b64 v3, v[1:2], s[0:1]
	s_nop 0
	s_sendmsg sendmsg(MSG_DEALLOC_VGPRS)
	s_endpgm
	.section	.rodata,"a",@progbits
	.p2align	6, 0x0
	.amdhsa_kernel _Z25blocked_to_striped_kernelI12hip_bfloat16S0_Lj512ELj4EEvPT_PT0_
		.amdhsa_group_segment_fixed_size 1056
		.amdhsa_private_segment_fixed_size 0
		.amdhsa_kernarg_size 16
		.amdhsa_user_sgpr_count 15
		.amdhsa_user_sgpr_dispatch_ptr 0
		.amdhsa_user_sgpr_queue_ptr 0
		.amdhsa_user_sgpr_kernarg_segment_ptr 1
		.amdhsa_user_sgpr_dispatch_id 0
		.amdhsa_user_sgpr_private_segment_size 0
		.amdhsa_wavefront_size32 1
		.amdhsa_uses_dynamic_stack 0
		.amdhsa_enable_private_segment 0
		.amdhsa_system_sgpr_workgroup_id_x 1
		.amdhsa_system_sgpr_workgroup_id_y 0
		.amdhsa_system_sgpr_workgroup_id_z 0
		.amdhsa_system_sgpr_workgroup_info 0
		.amdhsa_system_vgpr_workitem_id 0
		.amdhsa_next_free_vgpr 9
		.amdhsa_next_free_sgpr 16
		.amdhsa_reserve_vcc 0
		.amdhsa_float_round_mode_32 0
		.amdhsa_float_round_mode_16_64 0
		.amdhsa_float_denorm_mode_32 3
		.amdhsa_float_denorm_mode_16_64 3
		.amdhsa_dx10_clamp 1
		.amdhsa_ieee_mode 1
		.amdhsa_fp16_overflow 0
		.amdhsa_workgroup_processor_mode 1
		.amdhsa_memory_ordered 1
		.amdhsa_forward_progress 0
		.amdhsa_shared_vgpr_count 0
		.amdhsa_exception_fp_ieee_invalid_op 0
		.amdhsa_exception_fp_denorm_src 0
		.amdhsa_exception_fp_ieee_div_zero 0
		.amdhsa_exception_fp_ieee_overflow 0
		.amdhsa_exception_fp_ieee_underflow 0
		.amdhsa_exception_fp_ieee_inexact 0
		.amdhsa_exception_int_div_zero 0
	.end_amdhsa_kernel
	.section	.text._Z25blocked_to_striped_kernelI12hip_bfloat16S0_Lj512ELj4EEvPT_PT0_,"axG",@progbits,_Z25blocked_to_striped_kernelI12hip_bfloat16S0_Lj512ELj4EEvPT_PT0_,comdat
.Lfunc_end16:
	.size	_Z25blocked_to_striped_kernelI12hip_bfloat16S0_Lj512ELj4EEvPT_PT0_, .Lfunc_end16-_Z25blocked_to_striped_kernelI12hip_bfloat16S0_Lj512ELj4EEvPT_PT0_
                                        ; -- End function
	.section	.AMDGPU.csdata,"",@progbits
; Kernel info:
; codeLenInByte = 268
; NumSgprs: 16
; NumVgprs: 9
; ScratchSize: 0
; MemoryBound: 0
; FloatMode: 240
; IeeeMode: 1
; LDSByteSize: 1056 bytes/workgroup (compile time only)
; SGPRBlocks: 1
; VGPRBlocks: 1
; NumSGPRsForWavesPerEU: 16
; NumVGPRsForWavesPerEU: 9
; Occupancy: 16
; WaveLimiterHint : 0
; COMPUTE_PGM_RSRC2:SCRATCH_EN: 0
; COMPUTE_PGM_RSRC2:USER_SGPR: 15
; COMPUTE_PGM_RSRC2:TRAP_HANDLER: 0
; COMPUTE_PGM_RSRC2:TGID_X_EN: 1
; COMPUTE_PGM_RSRC2:TGID_Y_EN: 0
; COMPUTE_PGM_RSRC2:TGID_Z_EN: 0
; COMPUTE_PGM_RSRC2:TIDIG_COMP_CNT: 0
	.section	.text._Z25blocked_to_striped_kernelIfdLj512ELj4EEvPT_PT0_,"axG",@progbits,_Z25blocked_to_striped_kernelIfdLj512ELj4EEvPT_PT0_,comdat
	.protected	_Z25blocked_to_striped_kernelIfdLj512ELj4EEvPT_PT0_ ; -- Begin function _Z25blocked_to_striped_kernelIfdLj512ELj4EEvPT_PT0_
	.globl	_Z25blocked_to_striped_kernelIfdLj512ELj4EEvPT_PT0_
	.p2align	8
	.type	_Z25blocked_to_striped_kernelIfdLj512ELj4EEvPT_PT0_,@function
_Z25blocked_to_striped_kernelIfdLj512ELj4EEvPT_PT0_: ; @_Z25blocked_to_striped_kernelIfdLj512ELj4EEvPT_PT0_
; %bb.0:
	s_load_b128 s[0:3], s[0:1], 0x0
	s_mov_b32 s5, 0
	s_lshl_b32 s4, s15, 9
	v_lshlrev_b32_e32 v1, 4, v0
	s_lshl_b64 s[6:7], s[4:5], 2
	v_add_nc_u32_e32 v6, 0x80, v0
	v_add_nc_u32_e32 v7, 0x100, v0
	;; [unrolled: 1-line block ×3, first 2 shown]
	v_lshlrev_b32_e32 v5, 2, v0
	v_lshrrev_b32_e32 v9, 3, v0
	v_lshrrev_b32_e32 v10, 5, v0
	;; [unrolled: 1-line block ×5, first 2 shown]
	v_add_lshl_u32 v5, v9, v5, 2
	v_add_lshl_u32 v9, v10, v0, 2
	;; [unrolled: 1-line block ×5, first 2 shown]
	v_lshlrev_b32_e32 v0, 5, v0
	s_waitcnt lgkmcnt(0)
	s_add_u32 s0, s0, s6
	s_addc_u32 s1, s1, s7
	global_load_b128 v[1:4], v1, s[0:1]
	s_lshl_b64 s[0:1], s[4:5], 3
	s_waitcnt vmcnt(0)
	ds_store_2addr_b32 v5, v1, v2 offset1:1
	ds_store_2addr_b32 v5, v3, v4 offset0:2 offset1:3
	s_waitcnt lgkmcnt(0)
	s_barrier
	buffer_gl0_inv
	ds_load_b32 v1, v9
	ds_load_b32 v3, v6 offset:512
	ds_load_b32 v5, v7 offset:1024
	;; [unrolled: 1-line block ×3, first 2 shown]
	s_add_u32 s0, s2, s0
	s_addc_u32 s1, s3, s1
	s_waitcnt lgkmcnt(3)
	v_cvt_f64_f32_e32 v[1:2], v1
	s_waitcnt lgkmcnt(2)
	v_cvt_f64_f32_e32 v[3:4], v3
	;; [unrolled: 2-line block ×4, first 2 shown]
	s_clause 0x1
	global_store_b128 v0, v[1:4], s[0:1]
	global_store_b128 v0, v[5:8], s[0:1] offset:16
	s_nop 0
	s_sendmsg sendmsg(MSG_DEALLOC_VGPRS)
	s_endpgm
	.section	.rodata,"a",@progbits
	.p2align	6, 0x0
	.amdhsa_kernel _Z25blocked_to_striped_kernelIfdLj512ELj4EEvPT_PT0_
		.amdhsa_group_segment_fixed_size 2112
		.amdhsa_private_segment_fixed_size 0
		.amdhsa_kernarg_size 16
		.amdhsa_user_sgpr_count 15
		.amdhsa_user_sgpr_dispatch_ptr 0
		.amdhsa_user_sgpr_queue_ptr 0
		.amdhsa_user_sgpr_kernarg_segment_ptr 1
		.amdhsa_user_sgpr_dispatch_id 0
		.amdhsa_user_sgpr_private_segment_size 0
		.amdhsa_wavefront_size32 1
		.amdhsa_uses_dynamic_stack 0
		.amdhsa_enable_private_segment 0
		.amdhsa_system_sgpr_workgroup_id_x 1
		.amdhsa_system_sgpr_workgroup_id_y 0
		.amdhsa_system_sgpr_workgroup_id_z 0
		.amdhsa_system_sgpr_workgroup_info 0
		.amdhsa_system_vgpr_workitem_id 0
		.amdhsa_next_free_vgpr 11
		.amdhsa_next_free_sgpr 16
		.amdhsa_reserve_vcc 0
		.amdhsa_float_round_mode_32 0
		.amdhsa_float_round_mode_16_64 0
		.amdhsa_float_denorm_mode_32 3
		.amdhsa_float_denorm_mode_16_64 3
		.amdhsa_dx10_clamp 1
		.amdhsa_ieee_mode 1
		.amdhsa_fp16_overflow 0
		.amdhsa_workgroup_processor_mode 1
		.amdhsa_memory_ordered 1
		.amdhsa_forward_progress 0
		.amdhsa_shared_vgpr_count 0
		.amdhsa_exception_fp_ieee_invalid_op 0
		.amdhsa_exception_fp_denorm_src 0
		.amdhsa_exception_fp_ieee_div_zero 0
		.amdhsa_exception_fp_ieee_overflow 0
		.amdhsa_exception_fp_ieee_underflow 0
		.amdhsa_exception_fp_ieee_inexact 0
		.amdhsa_exception_int_div_zero 0
	.end_amdhsa_kernel
	.section	.text._Z25blocked_to_striped_kernelIfdLj512ELj4EEvPT_PT0_,"axG",@progbits,_Z25blocked_to_striped_kernelIfdLj512ELj4EEvPT_PT0_,comdat
.Lfunc_end17:
	.size	_Z25blocked_to_striped_kernelIfdLj512ELj4EEvPT_PT0_, .Lfunc_end17-_Z25blocked_to_striped_kernelIfdLj512ELj4EEvPT_PT0_
                                        ; -- End function
	.section	.AMDGPU.csdata,"",@progbits
; Kernel info:
; codeLenInByte = 280
; NumSgprs: 16
; NumVgprs: 11
; ScratchSize: 0
; MemoryBound: 0
; FloatMode: 240
; IeeeMode: 1
; LDSByteSize: 2112 bytes/workgroup (compile time only)
; SGPRBlocks: 1
; VGPRBlocks: 1
; NumSGPRsForWavesPerEU: 16
; NumVGPRsForWavesPerEU: 11
; Occupancy: 16
; WaveLimiterHint : 0
; COMPUTE_PGM_RSRC2:SCRATCH_EN: 0
; COMPUTE_PGM_RSRC2:USER_SGPR: 15
; COMPUTE_PGM_RSRC2:TRAP_HANDLER: 0
; COMPUTE_PGM_RSRC2:TGID_X_EN: 1
; COMPUTE_PGM_RSRC2:TGID_Y_EN: 0
; COMPUTE_PGM_RSRC2:TGID_Z_EN: 0
; COMPUTE_PGM_RSRC2:TIDIG_COMP_CNT: 0
	.section	.text._Z25blocked_to_striped_kernelIiiLj512ELj4EEvPT_PT0_,"axG",@progbits,_Z25blocked_to_striped_kernelIiiLj512ELj4EEvPT_PT0_,comdat
	.protected	_Z25blocked_to_striped_kernelIiiLj512ELj4EEvPT_PT0_ ; -- Begin function _Z25blocked_to_striped_kernelIiiLj512ELj4EEvPT_PT0_
	.globl	_Z25blocked_to_striped_kernelIiiLj512ELj4EEvPT_PT0_
	.p2align	8
	.type	_Z25blocked_to_striped_kernelIiiLj512ELj4EEvPT_PT0_,@function
_Z25blocked_to_striped_kernelIiiLj512ELj4EEvPT_PT0_: ; @_Z25blocked_to_striped_kernelIiiLj512ELj4EEvPT_PT0_
; %bb.0:
	s_load_b128 s[0:3], s[0:1], 0x0
	s_mov_b32 s5, 0
	s_lshl_b32 s4, s15, 9
	v_lshlrev_b32_e32 v5, 4, v0
	s_lshl_b64 s[4:5], s[4:5], 2
	v_add_nc_u32_e32 v7, 0x80, v0
	v_add_nc_u32_e32 v8, 0x100, v0
	;; [unrolled: 1-line block ×3, first 2 shown]
	v_lshlrev_b32_e32 v6, 2, v0
	v_lshrrev_b32_e32 v10, 3, v0
	v_lshrrev_b32_e32 v11, 5, v0
	;; [unrolled: 1-line block ×5, first 2 shown]
	v_add_lshl_u32 v6, v10, v6, 2
	v_add_lshl_u32 v10, v11, v0, 2
	;; [unrolled: 1-line block ×5, first 2 shown]
	s_waitcnt lgkmcnt(0)
	s_add_u32 s0, s0, s4
	s_addc_u32 s1, s1, s5
	global_load_b128 v[1:4], v5, s[0:1]
	s_add_u32 s0, s2, s4
	s_addc_u32 s1, s3, s5
	s_waitcnt vmcnt(0)
	ds_store_2addr_b32 v6, v1, v2 offset1:1
	ds_store_2addr_b32 v6, v3, v4 offset0:2 offset1:3
	s_waitcnt lgkmcnt(0)
	s_barrier
	buffer_gl0_inv
	ds_load_b32 v0, v10
	ds_load_b32 v1, v7 offset:512
	ds_load_b32 v2, v8 offset:1024
	ds_load_b32 v3, v9 offset:1536
	s_waitcnt lgkmcnt(0)
	global_store_b128 v5, v[0:3], s[0:1]
	s_nop 0
	s_sendmsg sendmsg(MSG_DEALLOC_VGPRS)
	s_endpgm
	.section	.rodata,"a",@progbits
	.p2align	6, 0x0
	.amdhsa_kernel _Z25blocked_to_striped_kernelIiiLj512ELj4EEvPT_PT0_
		.amdhsa_group_segment_fixed_size 2112
		.amdhsa_private_segment_fixed_size 0
		.amdhsa_kernarg_size 16
		.amdhsa_user_sgpr_count 15
		.amdhsa_user_sgpr_dispatch_ptr 0
		.amdhsa_user_sgpr_queue_ptr 0
		.amdhsa_user_sgpr_kernarg_segment_ptr 1
		.amdhsa_user_sgpr_dispatch_id 0
		.amdhsa_user_sgpr_private_segment_size 0
		.amdhsa_wavefront_size32 1
		.amdhsa_uses_dynamic_stack 0
		.amdhsa_enable_private_segment 0
		.amdhsa_system_sgpr_workgroup_id_x 1
		.amdhsa_system_sgpr_workgroup_id_y 0
		.amdhsa_system_sgpr_workgroup_id_z 0
		.amdhsa_system_sgpr_workgroup_info 0
		.amdhsa_system_vgpr_workitem_id 0
		.amdhsa_next_free_vgpr 12
		.amdhsa_next_free_sgpr 16
		.amdhsa_reserve_vcc 0
		.amdhsa_float_round_mode_32 0
		.amdhsa_float_round_mode_16_64 0
		.amdhsa_float_denorm_mode_32 3
		.amdhsa_float_denorm_mode_16_64 3
		.amdhsa_dx10_clamp 1
		.amdhsa_ieee_mode 1
		.amdhsa_fp16_overflow 0
		.amdhsa_workgroup_processor_mode 1
		.amdhsa_memory_ordered 1
		.amdhsa_forward_progress 0
		.amdhsa_shared_vgpr_count 0
		.amdhsa_exception_fp_ieee_invalid_op 0
		.amdhsa_exception_fp_denorm_src 0
		.amdhsa_exception_fp_ieee_div_zero 0
		.amdhsa_exception_fp_ieee_overflow 0
		.amdhsa_exception_fp_ieee_underflow 0
		.amdhsa_exception_fp_ieee_inexact 0
		.amdhsa_exception_int_div_zero 0
	.end_amdhsa_kernel
	.section	.text._Z25blocked_to_striped_kernelIiiLj512ELj4EEvPT_PT0_,"axG",@progbits,_Z25blocked_to_striped_kernelIiiLj512ELj4EEvPT_PT0_,comdat
.Lfunc_end18:
	.size	_Z25blocked_to_striped_kernelIiiLj512ELj4EEvPT_PT0_, .Lfunc_end18-_Z25blocked_to_striped_kernelIiiLj512ELj4EEvPT_PT0_
                                        ; -- End function
	.section	.AMDGPU.csdata,"",@progbits
; Kernel info:
; codeLenInByte = 232
; NumSgprs: 16
; NumVgprs: 12
; ScratchSize: 0
; MemoryBound: 0
; FloatMode: 240
; IeeeMode: 1
; LDSByteSize: 2112 bytes/workgroup (compile time only)
; SGPRBlocks: 1
; VGPRBlocks: 1
; NumSGPRsForWavesPerEU: 16
; NumVGPRsForWavesPerEU: 12
; Occupancy: 16
; WaveLimiterHint : 0
; COMPUTE_PGM_RSRC2:SCRATCH_EN: 0
; COMPUTE_PGM_RSRC2:USER_SGPR: 15
; COMPUTE_PGM_RSRC2:TRAP_HANDLER: 0
; COMPUTE_PGM_RSRC2:TGID_X_EN: 1
; COMPUTE_PGM_RSRC2:TGID_Y_EN: 0
; COMPUTE_PGM_RSRC2:TGID_Z_EN: 0
; COMPUTE_PGM_RSRC2:TIDIG_COMP_CNT: 0
	.section	.text._Z25striped_to_blocked_kernelIsiLj2106ELj9EEvPT_PT0_,"axG",@progbits,_Z25striped_to_blocked_kernelIsiLj2106ELj9EEvPT_PT0_,comdat
	.protected	_Z25striped_to_blocked_kernelIsiLj2106ELj9EEvPT_PT0_ ; -- Begin function _Z25striped_to_blocked_kernelIsiLj2106ELj9EEvPT_PT0_
	.globl	_Z25striped_to_blocked_kernelIsiLj2106ELj9EEvPT_PT0_
	.p2align	8
	.type	_Z25striped_to_blocked_kernelIsiLj2106ELj9EEvPT_PT0_,@function
_Z25striped_to_blocked_kernelIsiLj2106ELj9EEvPT_PT0_: ; @_Z25striped_to_blocked_kernelIsiLj2106ELj9EEvPT_PT0_
; %bb.0:
	s_load_b128 s[0:3], s[0:1], 0x0
	v_mul_u32_u24_e32 v5, 9, v0
	s_mov_b32 s5, 0
	s_mul_i32 s4, s15, 0x83a
	v_lshlrev_b32_e32 v0, 1, v0
	s_lshl_b64 s[6:7], s[4:5], 1
	v_lshlrev_b32_e32 v6, 1, v5
	v_lshlrev_b32_e32 v9, 2, v5
	s_waitcnt lgkmcnt(0)
	s_add_u32 s0, s0, s6
	s_addc_u32 s1, s1, s7
	s_clause 0x1
	global_load_b128 v[1:4], v6, s[0:1]
	global_load_u16 v7, v6, s[0:1] offset:16
	s_lshl_b64 s[0:1], s[4:5], 2
	s_waitcnt vmcnt(1)
	ds_store_b16 v0, v1
	ds_store_b16_d16_hi v0, v1 offset:468
	ds_store_b16 v0, v2 offset:936
	ds_store_b16_d16_hi v0, v2 offset:1404
	ds_store_b16 v0, v3 offset:1872
	;; [unrolled: 2-line block ×3, first 2 shown]
	ds_store_b16_d16_hi v0, v4 offset:3276
	s_waitcnt vmcnt(0)
	ds_store_b16 v0, v7 offset:3744
	s_waitcnt lgkmcnt(0)
	s_barrier
	buffer_gl0_inv
	ds_load_b128 v[0:3], v6
	ds_load_i16 v8, v6 offset:16
	s_add_u32 s0, s2, s0
	s_addc_u32 s1, s3, s1
	s_waitcnt lgkmcnt(1)
	v_bfe_i32 v4, v0, 0, 16
	v_ashrrev_i32_e32 v5, 16, v0
	v_bfe_i32 v6, v1, 0, 16
	v_ashrrev_i32_e32 v7, 16, v1
	;; [unrolled: 2-line block ×4, first 2 shown]
	s_clause 0x1
	global_store_b128 v9, v[4:7], s[0:1]
	global_store_b128 v9, v[0:3], s[0:1] offset:16
	s_waitcnt lgkmcnt(0)
	global_store_b32 v9, v8, s[0:1] offset:32
	s_nop 0
	s_sendmsg sendmsg(MSG_DEALLOC_VGPRS)
	s_endpgm
	.section	.rodata,"a",@progbits
	.p2align	6, 0x0
	.amdhsa_kernel _Z25striped_to_blocked_kernelIsiLj2106ELj9EEvPT_PT0_
		.amdhsa_group_segment_fixed_size 4224
		.amdhsa_private_segment_fixed_size 0
		.amdhsa_kernarg_size 16
		.amdhsa_user_sgpr_count 15
		.amdhsa_user_sgpr_dispatch_ptr 0
		.amdhsa_user_sgpr_queue_ptr 0
		.amdhsa_user_sgpr_kernarg_segment_ptr 1
		.amdhsa_user_sgpr_dispatch_id 0
		.amdhsa_user_sgpr_private_segment_size 0
		.amdhsa_wavefront_size32 1
		.amdhsa_uses_dynamic_stack 0
		.amdhsa_enable_private_segment 0
		.amdhsa_system_sgpr_workgroup_id_x 1
		.amdhsa_system_sgpr_workgroup_id_y 0
		.amdhsa_system_sgpr_workgroup_id_z 0
		.amdhsa_system_sgpr_workgroup_info 0
		.amdhsa_system_vgpr_workitem_id 0
		.amdhsa_next_free_vgpr 10
		.amdhsa_next_free_sgpr 16
		.amdhsa_reserve_vcc 0
		.amdhsa_float_round_mode_32 0
		.amdhsa_float_round_mode_16_64 0
		.amdhsa_float_denorm_mode_32 3
		.amdhsa_float_denorm_mode_16_64 3
		.amdhsa_dx10_clamp 1
		.amdhsa_ieee_mode 1
		.amdhsa_fp16_overflow 0
		.amdhsa_workgroup_processor_mode 1
		.amdhsa_memory_ordered 1
		.amdhsa_forward_progress 0
		.amdhsa_shared_vgpr_count 0
		.amdhsa_exception_fp_ieee_invalid_op 0
		.amdhsa_exception_fp_denorm_src 0
		.amdhsa_exception_fp_ieee_div_zero 0
		.amdhsa_exception_fp_ieee_overflow 0
		.amdhsa_exception_fp_ieee_underflow 0
		.amdhsa_exception_fp_ieee_inexact 0
		.amdhsa_exception_int_div_zero 0
	.end_amdhsa_kernel
	.section	.text._Z25striped_to_blocked_kernelIsiLj2106ELj9EEvPT_PT0_,"axG",@progbits,_Z25striped_to_blocked_kernelIsiLj2106ELj9EEvPT_PT0_,comdat
.Lfunc_end19:
	.size	_Z25striped_to_blocked_kernelIsiLj2106ELj9EEvPT_PT0_, .Lfunc_end19-_Z25striped_to_blocked_kernelIsiLj2106ELj9EEvPT_PT0_
                                        ; -- End function
	.section	.AMDGPU.csdata,"",@progbits
; Kernel info:
; codeLenInByte = 292
; NumSgprs: 16
; NumVgprs: 10
; ScratchSize: 0
; MemoryBound: 0
; FloatMode: 240
; IeeeMode: 1
; LDSByteSize: 4224 bytes/workgroup (compile time only)
; SGPRBlocks: 1
; VGPRBlocks: 1
; NumSGPRsForWavesPerEU: 16
; NumVGPRsForWavesPerEU: 10
; Occupancy: 16
; WaveLimiterHint : 0
; COMPUTE_PGM_RSRC2:SCRATCH_EN: 0
; COMPUTE_PGM_RSRC2:USER_SGPR: 15
; COMPUTE_PGM_RSRC2:TRAP_HANDLER: 0
; COMPUTE_PGM_RSRC2:TGID_X_EN: 1
; COMPUTE_PGM_RSRC2:TGID_Y_EN: 0
; COMPUTE_PGM_RSRC2:TGID_Z_EN: 0
; COMPUTE_PGM_RSRC2:TIDIG_COMP_CNT: 0
	.section	.text._Z25striped_to_blocked_kernelItjLj300ELj3EEvPT_PT0_,"axG",@progbits,_Z25striped_to_blocked_kernelItjLj300ELj3EEvPT_PT0_,comdat
	.protected	_Z25striped_to_blocked_kernelItjLj300ELj3EEvPT_PT0_ ; -- Begin function _Z25striped_to_blocked_kernelItjLj300ELj3EEvPT_PT0_
	.globl	_Z25striped_to_blocked_kernelItjLj300ELj3EEvPT_PT0_
	.p2align	8
	.type	_Z25striped_to_blocked_kernelItjLj300ELj3EEvPT_PT0_,@function
_Z25striped_to_blocked_kernelItjLj300ELj3EEvPT_PT0_: ; @_Z25striped_to_blocked_kernelItjLj300ELj3EEvPT_PT0_
; %bb.0:
	s_load_b128 s[0:3], s[0:1], 0x0
	v_mul_u32_u24_e32 v3, 3, v0
	s_mov_b32 s5, 0
	s_mul_i32 s4, s15, 0x12c
	v_lshlrev_b32_e32 v0, 1, v0
	s_lshl_b64 s[6:7], s[4:5], 1
	v_lshlrev_b32_e32 v2, 1, v3
	v_lshlrev_b32_e32 v3, 2, v3
	s_waitcnt lgkmcnt(0)
	s_add_u32 s0, s0, s6
	s_addc_u32 s1, s1, s7
	s_clause 0x1
	global_load_b32 v1, v2, s[0:1]
	global_load_u16 v4, v2, s[0:1] offset:4
	s_lshl_b64 s[0:1], s[4:5], 2
	s_waitcnt vmcnt(1)
	ds_store_b16 v0, v1
	ds_store_b16_d16_hi v0, v1 offset:200
	s_waitcnt vmcnt(0)
	ds_store_b16 v0, v4 offset:400
	s_waitcnt lgkmcnt(0)
	s_barrier
	buffer_gl0_inv
	ds_load_u16 v0, v2
	ds_load_u16 v1, v2 offset:2
	ds_load_u16 v2, v2 offset:4
	s_add_u32 s0, s2, s0
	s_addc_u32 s1, s3, s1
	s_waitcnt lgkmcnt(0)
	global_store_b96 v3, v[0:2], s[0:1]
	s_nop 0
	s_sendmsg sendmsg(MSG_DEALLOC_VGPRS)
	s_endpgm
	.section	.rodata,"a",@progbits
	.p2align	6, 0x0
	.amdhsa_kernel _Z25striped_to_blocked_kernelItjLj300ELj3EEvPT_PT0_
		.amdhsa_group_segment_fixed_size 608
		.amdhsa_private_segment_fixed_size 0
		.amdhsa_kernarg_size 16
		.amdhsa_user_sgpr_count 15
		.amdhsa_user_sgpr_dispatch_ptr 0
		.amdhsa_user_sgpr_queue_ptr 0
		.amdhsa_user_sgpr_kernarg_segment_ptr 1
		.amdhsa_user_sgpr_dispatch_id 0
		.amdhsa_user_sgpr_private_segment_size 0
		.amdhsa_wavefront_size32 1
		.amdhsa_uses_dynamic_stack 0
		.amdhsa_enable_private_segment 0
		.amdhsa_system_sgpr_workgroup_id_x 1
		.amdhsa_system_sgpr_workgroup_id_y 0
		.amdhsa_system_sgpr_workgroup_id_z 0
		.amdhsa_system_sgpr_workgroup_info 0
		.amdhsa_system_vgpr_workitem_id 0
		.amdhsa_next_free_vgpr 5
		.amdhsa_next_free_sgpr 16
		.amdhsa_reserve_vcc 0
		.amdhsa_float_round_mode_32 0
		.amdhsa_float_round_mode_16_64 0
		.amdhsa_float_denorm_mode_32 3
		.amdhsa_float_denorm_mode_16_64 3
		.amdhsa_dx10_clamp 1
		.amdhsa_ieee_mode 1
		.amdhsa_fp16_overflow 0
		.amdhsa_workgroup_processor_mode 1
		.amdhsa_memory_ordered 1
		.amdhsa_forward_progress 0
		.amdhsa_shared_vgpr_count 0
		.amdhsa_exception_fp_ieee_invalid_op 0
		.amdhsa_exception_fp_denorm_src 0
		.amdhsa_exception_fp_ieee_div_zero 0
		.amdhsa_exception_fp_ieee_overflow 0
		.amdhsa_exception_fp_ieee_underflow 0
		.amdhsa_exception_fp_ieee_inexact 0
		.amdhsa_exception_int_div_zero 0
	.end_amdhsa_kernel
	.section	.text._Z25striped_to_blocked_kernelItjLj300ELj3EEvPT_PT0_,"axG",@progbits,_Z25striped_to_blocked_kernelItjLj300ELj3EEvPT_PT0_,comdat
.Lfunc_end20:
	.size	_Z25striped_to_blocked_kernelItjLj300ELj3EEvPT_PT0_, .Lfunc_end20-_Z25striped_to_blocked_kernelItjLj300ELj3EEvPT_PT0_
                                        ; -- End function
	.section	.AMDGPU.csdata,"",@progbits
; Kernel info:
; codeLenInByte = 180
; NumSgprs: 16
; NumVgprs: 5
; ScratchSize: 0
; MemoryBound: 0
; FloatMode: 240
; IeeeMode: 1
; LDSByteSize: 608 bytes/workgroup (compile time only)
; SGPRBlocks: 1
; VGPRBlocks: 0
; NumSGPRsForWavesPerEU: 16
; NumVGPRsForWavesPerEU: 5
; Occupancy: 16
; WaveLimiterHint : 0
; COMPUTE_PGM_RSRC2:SCRATCH_EN: 0
; COMPUTE_PGM_RSRC2:USER_SGPR: 15
; COMPUTE_PGM_RSRC2:TRAP_HANDLER: 0
; COMPUTE_PGM_RSRC2:TGID_X_EN: 1
; COMPUTE_PGM_RSRC2:TGID_Y_EN: 0
; COMPUTE_PGM_RSRC2:TGID_Z_EN: 0
; COMPUTE_PGM_RSRC2:TIDIG_COMP_CNT: 0
	.section	.text._Z25striped_to_blocked_kernelIc5dummyIdELj928ELj2EEvPT_PT0_,"axG",@progbits,_Z25striped_to_blocked_kernelIc5dummyIdELj928ELj2EEvPT_PT0_,comdat
	.protected	_Z25striped_to_blocked_kernelIc5dummyIdELj928ELj2EEvPT_PT0_ ; -- Begin function _Z25striped_to_blocked_kernelIc5dummyIdELj928ELj2EEvPT_PT0_
	.globl	_Z25striped_to_blocked_kernelIc5dummyIdELj928ELj2EEvPT_PT0_
	.p2align	8
	.type	_Z25striped_to_blocked_kernelIc5dummyIdELj928ELj2EEvPT_PT0_,@function
_Z25striped_to_blocked_kernelIc5dummyIdELj928ELj2EEvPT_PT0_: ; @_Z25striped_to_blocked_kernelIc5dummyIdELj928ELj2EEvPT_PT0_
; %bb.0:
	s_load_b128 s[0:3], s[0:1], 0x0
	s_mul_i32 s4, s15, 0x3a0
	v_lshlrev_b32_e32 v1, 1, v0
	v_add_nc_u32_e32 v3, 0x1d0, v0
	v_lshrrev_b32_e32 v4, 5, v0
	v_lshrrev_b32_e32 v5, 4, v0
	s_mov_b32 s5, 0
	s_delay_alu instid0(VALU_DEP_3) | instskip(NEXT) | instid1(VALU_DEP_3)
	v_lshrrev_b32_e32 v3, 5, v3
	v_and_b32_e32 v4, 12, v4
	s_delay_alu instid0(VALU_DEP_3) | instskip(NEXT) | instid1(VALU_DEP_3)
	v_and_b32_e32 v5, 28, v5
	v_and_b32_e32 v3, 28, v3
	s_delay_alu instid0(VALU_DEP_3) | instskip(NEXT) | instid1(VALU_DEP_2)
	v_add_nc_u32_e32 v4, v4, v0
	v_add_nc_u32_e32 v3, v3, v0
	v_lshlrev_b32_e32 v0, 5, v0
	s_waitcnt lgkmcnt(0)
	s_add_u32 s0, s0, s4
	s_addc_u32 s1, s1, 0
	global_load_u16 v2, v1, s[0:1]
	v_add_nc_u32_e32 v1, v5, v1
	s_lshl_b64 s[0:1], s[4:5], 4
	s_delay_alu instid0(SALU_CYCLE_1)
	s_add_u32 s0, s2, s0
	s_addc_u32 s1, s3, s1
	s_waitcnt vmcnt(0)
	v_lshrrev_b16 v6, 8, v2
	ds_store_b8 v4, v2
	ds_store_b8 v3, v6 offset:464
	s_waitcnt lgkmcnt(0)
	s_barrier
	buffer_gl0_inv
	ds_load_i8 v2, v1
	ds_load_i8 v1, v1 offset:1
	s_waitcnt lgkmcnt(1)
	v_add_nc_u32_e32 v3, 1, v2
	v_lshlrev_b32_e32 v4, 1, v2
	s_waitcnt lgkmcnt(0)
	v_add_nc_u32_e32 v5, 1, v1
	v_lshlrev_b32_e32 v7, 1, v1
	v_cvt_f64_i32_e32 v[1:2], v3
	v_cvt_f64_i32_e32 v[3:4], v4
	s_delay_alu instid0(VALU_DEP_4) | instskip(NEXT) | instid1(VALU_DEP_4)
	v_cvt_f64_i32_e32 v[5:6], v5
	v_cvt_f64_i32_e32 v[7:8], v7
	s_clause 0x1
	global_store_b128 v0, v[1:4], s[0:1]
	global_store_b128 v0, v[5:8], s[0:1] offset:16
	s_nop 0
	s_sendmsg sendmsg(MSG_DEALLOC_VGPRS)
	s_endpgm
	.section	.rodata,"a",@progbits
	.p2align	6, 0x0
	.amdhsa_kernel _Z25striped_to_blocked_kernelIc5dummyIdELj928ELj2EEvPT_PT0_
		.amdhsa_group_segment_fixed_size 960
		.amdhsa_private_segment_fixed_size 0
		.amdhsa_kernarg_size 16
		.amdhsa_user_sgpr_count 15
		.amdhsa_user_sgpr_dispatch_ptr 0
		.amdhsa_user_sgpr_queue_ptr 0
		.amdhsa_user_sgpr_kernarg_segment_ptr 1
		.amdhsa_user_sgpr_dispatch_id 0
		.amdhsa_user_sgpr_private_segment_size 0
		.amdhsa_wavefront_size32 1
		.amdhsa_uses_dynamic_stack 0
		.amdhsa_enable_private_segment 0
		.amdhsa_system_sgpr_workgroup_id_x 1
		.amdhsa_system_sgpr_workgroup_id_y 0
		.amdhsa_system_sgpr_workgroup_id_z 0
		.amdhsa_system_sgpr_workgroup_info 0
		.amdhsa_system_vgpr_workitem_id 0
		.amdhsa_next_free_vgpr 9
		.amdhsa_next_free_sgpr 16
		.amdhsa_reserve_vcc 0
		.amdhsa_float_round_mode_32 0
		.amdhsa_float_round_mode_16_64 0
		.amdhsa_float_denorm_mode_32 3
		.amdhsa_float_denorm_mode_16_64 3
		.amdhsa_dx10_clamp 1
		.amdhsa_ieee_mode 1
		.amdhsa_fp16_overflow 0
		.amdhsa_workgroup_processor_mode 1
		.amdhsa_memory_ordered 1
		.amdhsa_forward_progress 0
		.amdhsa_shared_vgpr_count 0
		.amdhsa_exception_fp_ieee_invalid_op 0
		.amdhsa_exception_fp_denorm_src 0
		.amdhsa_exception_fp_ieee_div_zero 0
		.amdhsa_exception_fp_ieee_overflow 0
		.amdhsa_exception_fp_ieee_underflow 0
		.amdhsa_exception_fp_ieee_inexact 0
		.amdhsa_exception_int_div_zero 0
	.end_amdhsa_kernel
	.section	.text._Z25striped_to_blocked_kernelIc5dummyIdELj928ELj2EEvPT_PT0_,"axG",@progbits,_Z25striped_to_blocked_kernelIc5dummyIdELj928ELj2EEvPT_PT0_,comdat
.Lfunc_end21:
	.size	_Z25striped_to_blocked_kernelIc5dummyIdELj928ELj2EEvPT_PT0_, .Lfunc_end21-_Z25striped_to_blocked_kernelIc5dummyIdELj928ELj2EEvPT_PT0_
                                        ; -- End function
	.section	.AMDGPU.csdata,"",@progbits
; Kernel info:
; codeLenInByte = 256
; NumSgprs: 16
; NumVgprs: 9
; ScratchSize: 0
; MemoryBound: 0
; FloatMode: 240
; IeeeMode: 1
; LDSByteSize: 960 bytes/workgroup (compile time only)
; SGPRBlocks: 1
; VGPRBlocks: 1
; NumSGPRsForWavesPerEU: 16
; NumVGPRsForWavesPerEU: 9
; Occupancy: 16
; WaveLimiterHint : 0
; COMPUTE_PGM_RSRC2:SCRATCH_EN: 0
; COMPUTE_PGM_RSRC2:USER_SGPR: 15
; COMPUTE_PGM_RSRC2:TRAP_HANDLER: 0
; COMPUTE_PGM_RSRC2:TGID_X_EN: 1
; COMPUTE_PGM_RSRC2:TGID_Y_EN: 0
; COMPUTE_PGM_RSRC2:TGID_Z_EN: 0
; COMPUTE_PGM_RSRC2:TIDIG_COMP_CNT: 0
	.section	.text._Z25striped_to_blocked_kernelIfiLj165ELj5EEvPT_PT0_,"axG",@progbits,_Z25striped_to_blocked_kernelIfiLj165ELj5EEvPT_PT0_,comdat
	.protected	_Z25striped_to_blocked_kernelIfiLj165ELj5EEvPT_PT0_ ; -- Begin function _Z25striped_to_blocked_kernelIfiLj165ELj5EEvPT_PT0_
	.globl	_Z25striped_to_blocked_kernelIfiLj165ELj5EEvPT_PT0_
	.p2align	8
	.type	_Z25striped_to_blocked_kernelIfiLj165ELj5EEvPT_PT0_,@function
_Z25striped_to_blocked_kernelIfiLj165ELj5EEvPT_PT0_: ; @_Z25striped_to_blocked_kernelIfiLj165ELj5EEvPT_PT0_
; %bb.0:
	s_load_b128 s[0:3], s[0:1], 0x0
	v_mul_u32_u24_e32 v1, 5, v0
	s_mov_b32 s5, 0
	s_mul_i32 s4, s15, 0xa5
	v_lshlrev_b32_e32 v0, 2, v0
	s_lshl_b64 s[4:5], s[4:5], 2
	v_lshlrev_b32_e32 v5, 2, v1
	s_waitcnt lgkmcnt(0)
	s_add_u32 s0, s0, s4
	s_addc_u32 s1, s1, s5
	s_clause 0x1
	global_load_b128 v[1:4], v5, s[0:1]
	global_load_b32 v6, v5, s[0:1] offset:16
	s_add_u32 s0, s2, s4
	s_addc_u32 s1, s3, s5
	s_waitcnt vmcnt(1)
	ds_store_2addr_b32 v0, v1, v2 offset1:33
	ds_store_2addr_b32 v0, v3, v4 offset0:66 offset1:99
	s_waitcnt vmcnt(0)
	ds_store_b32 v0, v6 offset:528
	s_waitcnt lgkmcnt(0)
	s_barrier
	buffer_gl0_inv
	ds_load_2addr_b32 v[0:1], v5 offset1:1
	ds_load_2addr_b32 v[2:3], v5 offset0:2 offset1:3
	ds_load_b32 v4, v5 offset:16
	s_waitcnt lgkmcnt(2)
	v_cvt_i32_f32_e32 v0, v0
	v_cvt_i32_f32_e32 v1, v1
	s_waitcnt lgkmcnt(1)
	v_cvt_i32_f32_e32 v2, v2
	v_cvt_i32_f32_e32 v3, v3
	s_waitcnt lgkmcnt(0)
	v_cvt_i32_f32_e32 v4, v4
	s_clause 0x1
	global_store_b128 v5, v[0:3], s[0:1]
	global_store_b32 v5, v4, s[0:1] offset:16
	s_nop 0
	s_sendmsg sendmsg(MSG_DEALLOC_VGPRS)
	s_endpgm
	.section	.rodata,"a",@progbits
	.p2align	6, 0x0
	.amdhsa_kernel _Z25striped_to_blocked_kernelIfiLj165ELj5EEvPT_PT0_
		.amdhsa_group_segment_fixed_size 672
		.amdhsa_private_segment_fixed_size 0
		.amdhsa_kernarg_size 16
		.amdhsa_user_sgpr_count 15
		.amdhsa_user_sgpr_dispatch_ptr 0
		.amdhsa_user_sgpr_queue_ptr 0
		.amdhsa_user_sgpr_kernarg_segment_ptr 1
		.amdhsa_user_sgpr_dispatch_id 0
		.amdhsa_user_sgpr_private_segment_size 0
		.amdhsa_wavefront_size32 1
		.amdhsa_uses_dynamic_stack 0
		.amdhsa_enable_private_segment 0
		.amdhsa_system_sgpr_workgroup_id_x 1
		.amdhsa_system_sgpr_workgroup_id_y 0
		.amdhsa_system_sgpr_workgroup_id_z 0
		.amdhsa_system_sgpr_workgroup_info 0
		.amdhsa_system_vgpr_workitem_id 0
		.amdhsa_next_free_vgpr 7
		.amdhsa_next_free_sgpr 16
		.amdhsa_reserve_vcc 0
		.amdhsa_float_round_mode_32 0
		.amdhsa_float_round_mode_16_64 0
		.amdhsa_float_denorm_mode_32 3
		.amdhsa_float_denorm_mode_16_64 3
		.amdhsa_dx10_clamp 1
		.amdhsa_ieee_mode 1
		.amdhsa_fp16_overflow 0
		.amdhsa_workgroup_processor_mode 1
		.amdhsa_memory_ordered 1
		.amdhsa_forward_progress 0
		.amdhsa_shared_vgpr_count 0
		.amdhsa_exception_fp_ieee_invalid_op 0
		.amdhsa_exception_fp_denorm_src 0
		.amdhsa_exception_fp_ieee_div_zero 0
		.amdhsa_exception_fp_ieee_overflow 0
		.amdhsa_exception_fp_ieee_underflow 0
		.amdhsa_exception_fp_ieee_inexact 0
		.amdhsa_exception_int_div_zero 0
	.end_amdhsa_kernel
	.section	.text._Z25striped_to_blocked_kernelIfiLj165ELj5EEvPT_PT0_,"axG",@progbits,_Z25striped_to_blocked_kernelIfiLj165ELj5EEvPT_PT0_,comdat
.Lfunc_end22:
	.size	_Z25striped_to_blocked_kernelIfiLj165ELj5EEvPT_PT0_, .Lfunc_end22-_Z25striped_to_blocked_kernelIfiLj165ELj5EEvPT_PT0_
                                        ; -- End function
	.section	.AMDGPU.csdata,"",@progbits
; Kernel info:
; codeLenInByte = 212
; NumSgprs: 16
; NumVgprs: 7
; ScratchSize: 0
; MemoryBound: 0
; FloatMode: 240
; IeeeMode: 1
; LDSByteSize: 672 bytes/workgroup (compile time only)
; SGPRBlocks: 1
; VGPRBlocks: 0
; NumSGPRsForWavesPerEU: 16
; NumVGPRsForWavesPerEU: 7
; Occupancy: 16
; WaveLimiterHint : 0
; COMPUTE_PGM_RSRC2:SCRATCH_EN: 0
; COMPUTE_PGM_RSRC2:USER_SGPR: 15
; COMPUTE_PGM_RSRC2:TRAP_HANDLER: 0
; COMPUTE_PGM_RSRC2:TGID_X_EN: 1
; COMPUTE_PGM_RSRC2:TGID_Y_EN: 0
; COMPUTE_PGM_RSRC2:TGID_Z_EN: 0
; COMPUTE_PGM_RSRC2:TIDIG_COMP_CNT: 0
	.section	.text._Z25striped_to_blocked_kernelIidLj165ELj5EEvPT_PT0_,"axG",@progbits,_Z25striped_to_blocked_kernelIidLj165ELj5EEvPT_PT0_,comdat
	.protected	_Z25striped_to_blocked_kernelIidLj165ELj5EEvPT_PT0_ ; -- Begin function _Z25striped_to_blocked_kernelIidLj165ELj5EEvPT_PT0_
	.globl	_Z25striped_to_blocked_kernelIidLj165ELj5EEvPT_PT0_
	.p2align	8
	.type	_Z25striped_to_blocked_kernelIidLj165ELj5EEvPT_PT0_,@function
_Z25striped_to_blocked_kernelIidLj165ELj5EEvPT_PT0_: ; @_Z25striped_to_blocked_kernelIidLj165ELj5EEvPT_PT0_
; %bb.0:
	s_load_b128 s[0:3], s[0:1], 0x0
	v_mul_u32_u24_e32 v10, 5, v0
	s_mov_b32 s5, 0
	s_mul_i32 s4, s15, 0xa5
	v_lshlrev_b32_e32 v0, 2, v0
	s_lshl_b64 s[6:7], s[4:5], 2
	v_lshlrev_b32_e32 v7, 2, v10
	v_lshlrev_b32_e32 v10, 3, v10
	s_waitcnt lgkmcnt(0)
	s_add_u32 s0, s0, s6
	s_addc_u32 s1, s1, s7
	s_clause 0x1
	global_load_b128 v[1:4], v7, s[0:1]
	global_load_b32 v5, v7, s[0:1] offset:16
	s_lshl_b64 s[0:1], s[4:5], 3
	s_waitcnt vmcnt(1)
	ds_store_2addr_b32 v0, v1, v2 offset1:33
	ds_store_2addr_b32 v0, v3, v4 offset0:66 offset1:99
	s_waitcnt vmcnt(0)
	ds_store_b32 v0, v5 offset:528
	s_waitcnt lgkmcnt(0)
	s_barrier
	buffer_gl0_inv
	ds_load_2addr_b32 v[1:2], v7 offset1:1
	ds_load_2addr_b32 v[5:6], v7 offset0:2 offset1:3
	ds_load_b32 v8, v7 offset:16
	s_add_u32 s0, s2, s0
	s_addc_u32 s1, s3, s1
	s_waitcnt lgkmcnt(2)
	v_cvt_f64_i32_e32 v[0:1], v1
	v_cvt_f64_i32_e32 v[2:3], v2
	s_waitcnt lgkmcnt(1)
	v_cvt_f64_i32_e32 v[4:5], v5
	v_cvt_f64_i32_e32 v[6:7], v6
	s_waitcnt lgkmcnt(0)
	v_cvt_f64_i32_e32 v[8:9], v8
	s_clause 0x2
	global_store_b128 v10, v[0:3], s[0:1]
	global_store_b128 v10, v[4:7], s[0:1] offset:16
	global_store_b64 v10, v[8:9], s[0:1] offset:32
	s_nop 0
	s_sendmsg sendmsg(MSG_DEALLOC_VGPRS)
	s_endpgm
	.section	.rodata,"a",@progbits
	.p2align	6, 0x0
	.amdhsa_kernel _Z25striped_to_blocked_kernelIidLj165ELj5EEvPT_PT0_
		.amdhsa_group_segment_fixed_size 672
		.amdhsa_private_segment_fixed_size 0
		.amdhsa_kernarg_size 16
		.amdhsa_user_sgpr_count 15
		.amdhsa_user_sgpr_dispatch_ptr 0
		.amdhsa_user_sgpr_queue_ptr 0
		.amdhsa_user_sgpr_kernarg_segment_ptr 1
		.amdhsa_user_sgpr_dispatch_id 0
		.amdhsa_user_sgpr_private_segment_size 0
		.amdhsa_wavefront_size32 1
		.amdhsa_uses_dynamic_stack 0
		.amdhsa_enable_private_segment 0
		.amdhsa_system_sgpr_workgroup_id_x 1
		.amdhsa_system_sgpr_workgroup_id_y 0
		.amdhsa_system_sgpr_workgroup_id_z 0
		.amdhsa_system_sgpr_workgroup_info 0
		.amdhsa_system_vgpr_workitem_id 0
		.amdhsa_next_free_vgpr 11
		.amdhsa_next_free_sgpr 16
		.amdhsa_reserve_vcc 0
		.amdhsa_float_round_mode_32 0
		.amdhsa_float_round_mode_16_64 0
		.amdhsa_float_denorm_mode_32 3
		.amdhsa_float_denorm_mode_16_64 3
		.amdhsa_dx10_clamp 1
		.amdhsa_ieee_mode 1
		.amdhsa_fp16_overflow 0
		.amdhsa_workgroup_processor_mode 1
		.amdhsa_memory_ordered 1
		.amdhsa_forward_progress 0
		.amdhsa_shared_vgpr_count 0
		.amdhsa_exception_fp_ieee_invalid_op 0
		.amdhsa_exception_fp_denorm_src 0
		.amdhsa_exception_fp_ieee_div_zero 0
		.amdhsa_exception_fp_ieee_overflow 0
		.amdhsa_exception_fp_ieee_underflow 0
		.amdhsa_exception_fp_ieee_inexact 0
		.amdhsa_exception_int_div_zero 0
	.end_amdhsa_kernel
	.section	.text._Z25striped_to_blocked_kernelIidLj165ELj5EEvPT_PT0_,"axG",@progbits,_Z25striped_to_blocked_kernelIidLj165ELj5EEvPT_PT0_,comdat
.Lfunc_end23:
	.size	_Z25striped_to_blocked_kernelIidLj165ELj5EEvPT_PT0_, .Lfunc_end23-_Z25striped_to_blocked_kernelIidLj165ELj5EEvPT_PT0_
                                        ; -- End function
	.section	.AMDGPU.csdata,"",@progbits
; Kernel info:
; codeLenInByte = 228
; NumSgprs: 16
; NumVgprs: 11
; ScratchSize: 0
; MemoryBound: 0
; FloatMode: 240
; IeeeMode: 1
; LDSByteSize: 672 bytes/workgroup (compile time only)
; SGPRBlocks: 1
; VGPRBlocks: 1
; NumSGPRsForWavesPerEU: 16
; NumVGPRsForWavesPerEU: 11
; Occupancy: 16
; WaveLimiterHint : 0
; COMPUTE_PGM_RSRC2:SCRATCH_EN: 0
; COMPUTE_PGM_RSRC2:USER_SGPR: 15
; COMPUTE_PGM_RSRC2:TRAP_HANDLER: 0
; COMPUTE_PGM_RSRC2:TGID_X_EN: 1
; COMPUTE_PGM_RSRC2:TGID_Y_EN: 0
; COMPUTE_PGM_RSRC2:TGID_Z_EN: 0
; COMPUTE_PGM_RSRC2:TIDIG_COMP_CNT: 0
	.section	.text._Z25striped_to_blocked_kernelIyyLj192ELj3EEvPT_PT0_,"axG",@progbits,_Z25striped_to_blocked_kernelIyyLj192ELj3EEvPT_PT0_,comdat
	.protected	_Z25striped_to_blocked_kernelIyyLj192ELj3EEvPT_PT0_ ; -- Begin function _Z25striped_to_blocked_kernelIyyLj192ELj3EEvPT_PT0_
	.globl	_Z25striped_to_blocked_kernelIyyLj192ELj3EEvPT_PT0_
	.p2align	8
	.type	_Z25striped_to_blocked_kernelIyyLj192ELj3EEvPT_PT0_,@function
_Z25striped_to_blocked_kernelIyyLj192ELj3EEvPT_PT0_: ; @_Z25striped_to_blocked_kernelIyyLj192ELj3EEvPT_PT0_
; %bb.0:
	s_load_b128 s[0:3], s[0:1], 0x0
	v_mul_u32_u24_e32 v1, 3, v0
	s_mov_b32 s5, 0
	s_mul_i32 s4, s15, 0xc0
	v_lshlrev_b32_e32 v0, 3, v0
	s_lshl_b64 s[4:5], s[4:5], 3
	v_lshlrev_b32_e32 v7, 3, v1
	s_waitcnt lgkmcnt(0)
	s_add_u32 s0, s0, s4
	s_addc_u32 s1, s1, s5
	s_clause 0x1
	global_load_b128 v[1:4], v7, s[0:1]
	global_load_b64 v[5:6], v7, s[0:1] offset:16
	s_add_u32 s0, s2, s4
	s_addc_u32 s1, s3, s5
	s_waitcnt vmcnt(1)
	ds_store_2addr_stride64_b64 v0, v[1:2], v[3:4] offset1:1
	s_waitcnt vmcnt(0)
	ds_store_b64 v0, v[5:6] offset:1024
	s_waitcnt lgkmcnt(0)
	s_barrier
	buffer_gl0_inv
	ds_load_2addr_b64 v[0:3], v7 offset1:1
	ds_load_b64 v[4:5], v7 offset:16
	s_waitcnt lgkmcnt(1)
	global_store_b128 v7, v[0:3], s[0:1]
	s_waitcnt lgkmcnt(0)
	global_store_b64 v7, v[4:5], s[0:1] offset:16
	s_nop 0
	s_sendmsg sendmsg(MSG_DEALLOC_VGPRS)
	s_endpgm
	.section	.rodata,"a",@progbits
	.p2align	6, 0x0
	.amdhsa_kernel _Z25striped_to_blocked_kernelIyyLj192ELj3EEvPT_PT0_
		.amdhsa_group_segment_fixed_size 1536
		.amdhsa_private_segment_fixed_size 0
		.amdhsa_kernarg_size 16
		.amdhsa_user_sgpr_count 15
		.amdhsa_user_sgpr_dispatch_ptr 0
		.amdhsa_user_sgpr_queue_ptr 0
		.amdhsa_user_sgpr_kernarg_segment_ptr 1
		.amdhsa_user_sgpr_dispatch_id 0
		.amdhsa_user_sgpr_private_segment_size 0
		.amdhsa_wavefront_size32 1
		.amdhsa_uses_dynamic_stack 0
		.amdhsa_enable_private_segment 0
		.amdhsa_system_sgpr_workgroup_id_x 1
		.amdhsa_system_sgpr_workgroup_id_y 0
		.amdhsa_system_sgpr_workgroup_id_z 0
		.amdhsa_system_sgpr_workgroup_info 0
		.amdhsa_system_vgpr_workitem_id 0
		.amdhsa_next_free_vgpr 8
		.amdhsa_next_free_sgpr 16
		.amdhsa_reserve_vcc 0
		.amdhsa_float_round_mode_32 0
		.amdhsa_float_round_mode_16_64 0
		.amdhsa_float_denorm_mode_32 3
		.amdhsa_float_denorm_mode_16_64 3
		.amdhsa_dx10_clamp 1
		.amdhsa_ieee_mode 1
		.amdhsa_fp16_overflow 0
		.amdhsa_workgroup_processor_mode 1
		.amdhsa_memory_ordered 1
		.amdhsa_forward_progress 0
		.amdhsa_shared_vgpr_count 0
		.amdhsa_exception_fp_ieee_invalid_op 0
		.amdhsa_exception_fp_denorm_src 0
		.amdhsa_exception_fp_ieee_div_zero 0
		.amdhsa_exception_fp_ieee_overflow 0
		.amdhsa_exception_fp_ieee_underflow 0
		.amdhsa_exception_fp_ieee_inexact 0
		.amdhsa_exception_int_div_zero 0
	.end_amdhsa_kernel
	.section	.text._Z25striped_to_blocked_kernelIyyLj192ELj3EEvPT_PT0_,"axG",@progbits,_Z25striped_to_blocked_kernelIyyLj192ELj3EEvPT_PT0_,comdat
.Lfunc_end24:
	.size	_Z25striped_to_blocked_kernelIyyLj192ELj3EEvPT_PT0_, .Lfunc_end24-_Z25striped_to_blocked_kernelIyyLj192ELj3EEvPT_PT0_
                                        ; -- End function
	.section	.AMDGPU.csdata,"",@progbits
; Kernel info:
; codeLenInByte = 168
; NumSgprs: 16
; NumVgprs: 8
; ScratchSize: 0
; MemoryBound: 1
; FloatMode: 240
; IeeeMode: 1
; LDSByteSize: 1536 bytes/workgroup (compile time only)
; SGPRBlocks: 1
; VGPRBlocks: 0
; NumSGPRsForWavesPerEU: 16
; NumVGPRsForWavesPerEU: 8
; Occupancy: 16
; WaveLimiterHint : 1
; COMPUTE_PGM_RSRC2:SCRATCH_EN: 0
; COMPUTE_PGM_RSRC2:USER_SGPR: 15
; COMPUTE_PGM_RSRC2:TRAP_HANDLER: 0
; COMPUTE_PGM_RSRC2:TGID_X_EN: 1
; COMPUTE_PGM_RSRC2:TGID_Y_EN: 0
; COMPUTE_PGM_RSRC2:TGID_Z_EN: 0
; COMPUTE_PGM_RSRC2:TIDIG_COMP_CNT: 0
	.section	.text._Z25striped_to_blocked_kernelIiiLj384ELj3EEvPT_PT0_,"axG",@progbits,_Z25striped_to_blocked_kernelIiiLj384ELj3EEvPT_PT0_,comdat
	.protected	_Z25striped_to_blocked_kernelIiiLj384ELj3EEvPT_PT0_ ; -- Begin function _Z25striped_to_blocked_kernelIiiLj384ELj3EEvPT_PT0_
	.globl	_Z25striped_to_blocked_kernelIiiLj384ELj3EEvPT_PT0_
	.p2align	8
	.type	_Z25striped_to_blocked_kernelIiiLj384ELj3EEvPT_PT0_,@function
_Z25striped_to_blocked_kernelIiiLj384ELj3EEvPT_PT0_: ; @_Z25striped_to_blocked_kernelIiiLj384ELj3EEvPT_PT0_
; %bb.0:
	s_load_b128 s[0:3], s[0:1], 0x0
	v_mul_u32_u24_e32 v1, 3, v0
	s_mov_b32 s5, 0
	s_mul_i32 s4, s15, 0x180
	v_lshlrev_b32_e32 v0, 2, v0
	s_lshl_b64 s[4:5], s[4:5], 2
	v_lshlrev_b32_e32 v4, 2, v1
	s_waitcnt lgkmcnt(0)
	s_add_u32 s0, s0, s4
	s_addc_u32 s1, s1, s5
	global_load_b96 v[1:3], v4, s[0:1]
	s_add_u32 s0, s2, s4
	s_addc_u32 s1, s3, s5
	s_waitcnt vmcnt(0)
	ds_store_2addr_stride64_b32 v0, v1, v2 offset1:2
	ds_store_b32 v0, v3 offset:1024
	s_waitcnt lgkmcnt(0)
	s_barrier
	buffer_gl0_inv
	ds_load_2addr_b32 v[0:1], v4 offset1:1
	ds_load_b32 v2, v4 offset:8
	s_waitcnt lgkmcnt(0)
	global_store_b96 v4, v[0:2], s[0:1]
	s_nop 0
	s_sendmsg sendmsg(MSG_DEALLOC_VGPRS)
	s_endpgm
	.section	.rodata,"a",@progbits
	.p2align	6, 0x0
	.amdhsa_kernel _Z25striped_to_blocked_kernelIiiLj384ELj3EEvPT_PT0_
		.amdhsa_group_segment_fixed_size 1536
		.amdhsa_private_segment_fixed_size 0
		.amdhsa_kernarg_size 16
		.amdhsa_user_sgpr_count 15
		.amdhsa_user_sgpr_dispatch_ptr 0
		.amdhsa_user_sgpr_queue_ptr 0
		.amdhsa_user_sgpr_kernarg_segment_ptr 1
		.amdhsa_user_sgpr_dispatch_id 0
		.amdhsa_user_sgpr_private_segment_size 0
		.amdhsa_wavefront_size32 1
		.amdhsa_uses_dynamic_stack 0
		.amdhsa_enable_private_segment 0
		.amdhsa_system_sgpr_workgroup_id_x 1
		.amdhsa_system_sgpr_workgroup_id_y 0
		.amdhsa_system_sgpr_workgroup_id_z 0
		.amdhsa_system_sgpr_workgroup_info 0
		.amdhsa_system_vgpr_workitem_id 0
		.amdhsa_next_free_vgpr 5
		.amdhsa_next_free_sgpr 16
		.amdhsa_reserve_vcc 0
		.amdhsa_float_round_mode_32 0
		.amdhsa_float_round_mode_16_64 0
		.amdhsa_float_denorm_mode_32 3
		.amdhsa_float_denorm_mode_16_64 3
		.amdhsa_dx10_clamp 1
		.amdhsa_ieee_mode 1
		.amdhsa_fp16_overflow 0
		.amdhsa_workgroup_processor_mode 1
		.amdhsa_memory_ordered 1
		.amdhsa_forward_progress 0
		.amdhsa_shared_vgpr_count 0
		.amdhsa_exception_fp_ieee_invalid_op 0
		.amdhsa_exception_fp_denorm_src 0
		.amdhsa_exception_fp_ieee_div_zero 0
		.amdhsa_exception_fp_ieee_overflow 0
		.amdhsa_exception_fp_ieee_underflow 0
		.amdhsa_exception_fp_ieee_inexact 0
		.amdhsa_exception_int_div_zero 0
	.end_amdhsa_kernel
	.section	.text._Z25striped_to_blocked_kernelIiiLj384ELj3EEvPT_PT0_,"axG",@progbits,_Z25striped_to_blocked_kernelIiiLj384ELj3EEvPT_PT0_,comdat
.Lfunc_end25:
	.size	_Z25striped_to_blocked_kernelIiiLj384ELj3EEvPT_PT0_, .Lfunc_end25-_Z25striped_to_blocked_kernelIiiLj384ELj3EEvPT_PT0_
                                        ; -- End function
	.section	.AMDGPU.csdata,"",@progbits
; Kernel info:
; codeLenInByte = 140
; NumSgprs: 16
; NumVgprs: 5
; ScratchSize: 0
; MemoryBound: 0
; FloatMode: 240
; IeeeMode: 1
; LDSByteSize: 1536 bytes/workgroup (compile time only)
; SGPRBlocks: 1
; VGPRBlocks: 0
; NumSGPRsForWavesPerEU: 16
; NumVGPRsForWavesPerEU: 5
; Occupancy: 16
; WaveLimiterHint : 0
; COMPUTE_PGM_RSRC2:SCRATCH_EN: 0
; COMPUTE_PGM_RSRC2:USER_SGPR: 15
; COMPUTE_PGM_RSRC2:TRAP_HANDLER: 0
; COMPUTE_PGM_RSRC2:TGID_X_EN: 1
; COMPUTE_PGM_RSRC2:TGID_Y_EN: 0
; COMPUTE_PGM_RSRC2:TGID_Z_EN: 0
; COMPUTE_PGM_RSRC2:TIDIG_COMP_CNT: 0
	.section	.text._Z25striped_to_blocked_kernelIs5dummyIfELj896ELj7EEvPT_PT0_,"axG",@progbits,_Z25striped_to_blocked_kernelIs5dummyIfELj896ELj7EEvPT_PT0_,comdat
	.protected	_Z25striped_to_blocked_kernelIs5dummyIfELj896ELj7EEvPT_PT0_ ; -- Begin function _Z25striped_to_blocked_kernelIs5dummyIfELj896ELj7EEvPT_PT0_
	.globl	_Z25striped_to_blocked_kernelIs5dummyIfELj896ELj7EEvPT_PT0_
	.p2align	8
	.type	_Z25striped_to_blocked_kernelIs5dummyIfELj896ELj7EEvPT_PT0_,@function
_Z25striped_to_blocked_kernelIs5dummyIfELj896ELj7EEvPT_PT0_: ; @_Z25striped_to_blocked_kernelIs5dummyIfELj896ELj7EEvPT_PT0_
; %bb.0:
	s_load_b128 s[0:3], s[0:1], 0x0
	v_mul_u32_u24_e32 v4, 7, v0
	s_mov_b32 s5, 0
	s_mul_i32 s4, s15, 0x380
	v_lshlrev_b32_e32 v0, 1, v0
	s_lshl_b64 s[6:7], s[4:5], 1
	v_lshlrev_b32_e32 v5, 1, v4
	v_lshlrev_b32_e32 v14, 3, v4
	s_waitcnt lgkmcnt(0)
	s_add_u32 s0, s0, s6
	s_addc_u32 s1, s1, s7
	s_clause 0x1
	global_load_b96 v[1:3], v5, s[0:1]
	global_load_u16 v6, v5, s[0:1] offset:12
	s_lshl_b64 s[0:1], s[4:5], 3
	s_waitcnt vmcnt(1)
	ds_store_b16 v0, v1
	ds_store_b16_d16_hi v0, v1 offset:256
	ds_store_b16 v0, v2 offset:512
	ds_store_b16_d16_hi v0, v2 offset:768
	ds_store_b16 v0, v3 offset:1024
	ds_store_b16_d16_hi v0, v3 offset:1280
	s_waitcnt vmcnt(0)
	ds_store_b16 v0, v6 offset:1536
	s_waitcnt lgkmcnt(0)
	s_barrier
	buffer_gl0_inv
	ds_load_b96 v[0:2], v5
	ds_load_i16 v3, v5 offset:12
	s_add_u32 s0, s2, s0
	s_addc_u32 s1, s3, s1
	s_waitcnt lgkmcnt(1)
	v_bfe_i32 v4, v0, 0, 16
	v_ashrrev_i32_e32 v0, 16, v0
	v_bfe_i32 v5, v1, 0, 16
	v_ashrrev_i32_e32 v1, 16, v1
	;; [unrolled: 2-line block ×3, first 2 shown]
	s_waitcnt lgkmcnt(0)
	v_add_nc_u32_e32 v7, 1, v3
	v_lshlrev_b32_e32 v3, 1, v3
	v_add_nc_u32_e32 v8, 1, v4
	v_lshlrev_b32_e32 v4, 1, v4
	;; [unrolled: 2-line block ×7, first 2 shown]
	v_cvt_f32_i32_e32 v13, v3
	v_cvt_f32_i32_e32 v0, v8
	;; [unrolled: 1-line block ×14, first 2 shown]
	s_clause 0x3
	global_store_b128 v14, v[0:3], s[0:1]
	global_store_b128 v14, v[4:7], s[0:1] offset:16
	global_store_b128 v14, v[8:11], s[0:1] offset:32
	global_store_b64 v14, v[12:13], s[0:1] offset:48
	s_nop 0
	s_sendmsg sendmsg(MSG_DEALLOC_VGPRS)
	s_endpgm
	.section	.rodata,"a",@progbits
	.p2align	6, 0x0
	.amdhsa_kernel _Z25striped_to_blocked_kernelIs5dummyIfELj896ELj7EEvPT_PT0_
		.amdhsa_group_segment_fixed_size 1792
		.amdhsa_private_segment_fixed_size 0
		.amdhsa_kernarg_size 16
		.amdhsa_user_sgpr_count 15
		.amdhsa_user_sgpr_dispatch_ptr 0
		.amdhsa_user_sgpr_queue_ptr 0
		.amdhsa_user_sgpr_kernarg_segment_ptr 1
		.amdhsa_user_sgpr_dispatch_id 0
		.amdhsa_user_sgpr_private_segment_size 0
		.amdhsa_wavefront_size32 1
		.amdhsa_uses_dynamic_stack 0
		.amdhsa_enable_private_segment 0
		.amdhsa_system_sgpr_workgroup_id_x 1
		.amdhsa_system_sgpr_workgroup_id_y 0
		.amdhsa_system_sgpr_workgroup_id_z 0
		.amdhsa_system_sgpr_workgroup_info 0
		.amdhsa_system_vgpr_workitem_id 0
		.amdhsa_next_free_vgpr 21
		.amdhsa_next_free_sgpr 16
		.amdhsa_reserve_vcc 0
		.amdhsa_float_round_mode_32 0
		.amdhsa_float_round_mode_16_64 0
		.amdhsa_float_denorm_mode_32 3
		.amdhsa_float_denorm_mode_16_64 3
		.amdhsa_dx10_clamp 1
		.amdhsa_ieee_mode 1
		.amdhsa_fp16_overflow 0
		.amdhsa_workgroup_processor_mode 1
		.amdhsa_memory_ordered 1
		.amdhsa_forward_progress 0
		.amdhsa_shared_vgpr_count 0
		.amdhsa_exception_fp_ieee_invalid_op 0
		.amdhsa_exception_fp_denorm_src 0
		.amdhsa_exception_fp_ieee_div_zero 0
		.amdhsa_exception_fp_ieee_overflow 0
		.amdhsa_exception_fp_ieee_underflow 0
		.amdhsa_exception_fp_ieee_inexact 0
		.amdhsa_exception_int_div_zero 0
	.end_amdhsa_kernel
	.section	.text._Z25striped_to_blocked_kernelIs5dummyIfELj896ELj7EEvPT_PT0_,"axG",@progbits,_Z25striped_to_blocked_kernelIs5dummyIfELj896ELj7EEvPT_PT0_,comdat
.Lfunc_end26:
	.size	_Z25striped_to_blocked_kernelIs5dummyIfELj896ELj7EEvPT_PT0_, .Lfunc_end26-_Z25striped_to_blocked_kernelIs5dummyIfELj896ELj7EEvPT_PT0_
                                        ; -- End function
	.section	.AMDGPU.csdata,"",@progbits
; Kernel info:
; codeLenInByte = 384
; NumSgprs: 16
; NumVgprs: 21
; ScratchSize: 0
; MemoryBound: 0
; FloatMode: 240
; IeeeMode: 1
; LDSByteSize: 1792 bytes/workgroup (compile time only)
; SGPRBlocks: 1
; VGPRBlocks: 2
; NumSGPRsForWavesPerEU: 16
; NumVGPRsForWavesPerEU: 21
; Occupancy: 16
; WaveLimiterHint : 0
; COMPUTE_PGM_RSRC2:SCRATCH_EN: 0
; COMPUTE_PGM_RSRC2:USER_SGPR: 15
; COMPUTE_PGM_RSRC2:TRAP_HANDLER: 0
; COMPUTE_PGM_RSRC2:TGID_X_EN: 1
; COMPUTE_PGM_RSRC2:TGID_Y_EN: 0
; COMPUTE_PGM_RSRC2:TGID_Z_EN: 0
; COMPUTE_PGM_RSRC2:TIDIG_COMP_CNT: 0
	.section	.text._Z25striped_to_blocked_kernelIiiLj2560ELj5EEvPT_PT0_,"axG",@progbits,_Z25striped_to_blocked_kernelIiiLj2560ELj5EEvPT_PT0_,comdat
	.protected	_Z25striped_to_blocked_kernelIiiLj2560ELj5EEvPT_PT0_ ; -- Begin function _Z25striped_to_blocked_kernelIiiLj2560ELj5EEvPT_PT0_
	.globl	_Z25striped_to_blocked_kernelIiiLj2560ELj5EEvPT_PT0_
	.p2align	8
	.type	_Z25striped_to_blocked_kernelIiiLj2560ELj5EEvPT_PT0_,@function
_Z25striped_to_blocked_kernelIiiLj2560ELj5EEvPT_PT0_: ; @_Z25striped_to_blocked_kernelIiiLj2560ELj5EEvPT_PT0_
; %bb.0:
	s_load_b128 s[0:3], s[0:1], 0x0
	v_mul_u32_u24_e32 v1, 5, v0
	s_mov_b32 s5, 0
	s_mul_i32 s4, s15, 0xa00
	v_lshlrev_b32_e32 v0, 2, v0
	s_lshl_b64 s[4:5], s[4:5], 2
	v_lshlrev_b32_e32 v5, 2, v1
	s_waitcnt lgkmcnt(0)
	s_add_u32 s0, s0, s4
	s_addc_u32 s1, s1, s5
	s_clause 0x1
	global_load_b128 v[1:4], v5, s[0:1]
	global_load_b32 v6, v5, s[0:1] offset:16
	s_add_u32 s0, s2, s4
	s_addc_u32 s1, s3, s5
	s_waitcnt vmcnt(1)
	ds_store_2addr_stride64_b32 v0, v1, v2 offset1:8
	ds_store_2addr_stride64_b32 v0, v3, v4 offset0:16 offset1:24
	s_waitcnt vmcnt(0)
	ds_store_b32 v0, v6 offset:8192
	s_waitcnt lgkmcnt(0)
	s_barrier
	buffer_gl0_inv
	ds_load_2addr_b32 v[0:1], v5 offset1:1
	ds_load_2addr_b32 v[2:3], v5 offset0:2 offset1:3
	ds_load_b32 v4, v5 offset:16
	s_waitcnt lgkmcnt(1)
	global_store_b128 v5, v[0:3], s[0:1]
	s_waitcnt lgkmcnt(0)
	global_store_b32 v5, v4, s[0:1] offset:16
	s_nop 0
	s_sendmsg sendmsg(MSG_DEALLOC_VGPRS)
	s_endpgm
	.section	.rodata,"a",@progbits
	.p2align	6, 0x0
	.amdhsa_kernel _Z25striped_to_blocked_kernelIiiLj2560ELj5EEvPT_PT0_
		.amdhsa_group_segment_fixed_size 10240
		.amdhsa_private_segment_fixed_size 0
		.amdhsa_kernarg_size 16
		.amdhsa_user_sgpr_count 15
		.amdhsa_user_sgpr_dispatch_ptr 0
		.amdhsa_user_sgpr_queue_ptr 0
		.amdhsa_user_sgpr_kernarg_segment_ptr 1
		.amdhsa_user_sgpr_dispatch_id 0
		.amdhsa_user_sgpr_private_segment_size 0
		.amdhsa_wavefront_size32 1
		.amdhsa_uses_dynamic_stack 0
		.amdhsa_enable_private_segment 0
		.amdhsa_system_sgpr_workgroup_id_x 1
		.amdhsa_system_sgpr_workgroup_id_y 0
		.amdhsa_system_sgpr_workgroup_id_z 0
		.amdhsa_system_sgpr_workgroup_info 0
		.amdhsa_system_vgpr_workitem_id 0
		.amdhsa_next_free_vgpr 7
		.amdhsa_next_free_sgpr 16
		.amdhsa_reserve_vcc 0
		.amdhsa_float_round_mode_32 0
		.amdhsa_float_round_mode_16_64 0
		.amdhsa_float_denorm_mode_32 3
		.amdhsa_float_denorm_mode_16_64 3
		.amdhsa_dx10_clamp 1
		.amdhsa_ieee_mode 1
		.amdhsa_fp16_overflow 0
		.amdhsa_workgroup_processor_mode 1
		.amdhsa_memory_ordered 1
		.amdhsa_forward_progress 0
		.amdhsa_shared_vgpr_count 0
		.amdhsa_exception_fp_ieee_invalid_op 0
		.amdhsa_exception_fp_denorm_src 0
		.amdhsa_exception_fp_ieee_div_zero 0
		.amdhsa_exception_fp_ieee_overflow 0
		.amdhsa_exception_fp_ieee_underflow 0
		.amdhsa_exception_fp_ieee_inexact 0
		.amdhsa_exception_int_div_zero 0
	.end_amdhsa_kernel
	.section	.text._Z25striped_to_blocked_kernelIiiLj2560ELj5EEvPT_PT0_,"axG",@progbits,_Z25striped_to_blocked_kernelIiiLj2560ELj5EEvPT_PT0_,comdat
.Lfunc_end27:
	.size	_Z25striped_to_blocked_kernelIiiLj2560ELj5EEvPT_PT0_, .Lfunc_end27-_Z25striped_to_blocked_kernelIiiLj2560ELj5EEvPT_PT0_
                                        ; -- End function
	.section	.AMDGPU.csdata,"",@progbits
; Kernel info:
; codeLenInByte = 184
; NumSgprs: 16
; NumVgprs: 7
; ScratchSize: 0
; MemoryBound: 0
; FloatMode: 240
; IeeeMode: 1
; LDSByteSize: 10240 bytes/workgroup (compile time only)
; SGPRBlocks: 1
; VGPRBlocks: 0
; NumSGPRsForWavesPerEU: 16
; NumVGPRsForWavesPerEU: 7
; Occupancy: 16
; WaveLimiterHint : 0
; COMPUTE_PGM_RSRC2:SCRATCH_EN: 0
; COMPUTE_PGM_RSRC2:USER_SGPR: 15
; COMPUTE_PGM_RSRC2:TRAP_HANDLER: 0
; COMPUTE_PGM_RSRC2:TGID_X_EN: 1
; COMPUTE_PGM_RSRC2:TGID_Y_EN: 0
; COMPUTE_PGM_RSRC2:TGID_Z_EN: 0
; COMPUTE_PGM_RSRC2:TIDIG_COMP_CNT: 0
	.section	.text._Z25striped_to_blocked_kernelIxxLj1024ELj4EEvPT_PT0_,"axG",@progbits,_Z25striped_to_blocked_kernelIxxLj1024ELj4EEvPT_PT0_,comdat
	.protected	_Z25striped_to_blocked_kernelIxxLj1024ELj4EEvPT_PT0_ ; -- Begin function _Z25striped_to_blocked_kernelIxxLj1024ELj4EEvPT_PT0_
	.globl	_Z25striped_to_blocked_kernelIxxLj1024ELj4EEvPT_PT0_
	.p2align	8
	.type	_Z25striped_to_blocked_kernelIxxLj1024ELj4EEvPT_PT0_,@function
_Z25striped_to_blocked_kernelIxxLj1024ELj4EEvPT_PT0_: ; @_Z25striped_to_blocked_kernelIxxLj1024ELj4EEvPT_PT0_
; %bb.0:
	s_load_b128 s[0:3], s[0:1], 0x0
	s_mov_b32 s5, 0
	s_lshl_b32 s4, s15, 10
	v_lshlrev_b32_e32 v9, 5, v0
	s_lshl_b64 s[4:5], s[4:5], 3
	v_add_nc_u32_e32 v10, 0x100, v0
	v_or_b32_e32 v11, 0x200, v0
	v_add_nc_u32_e32 v12, 0x300, v0
	v_lshlrev_b32_e32 v13, 2, v0
	v_lshrrev_b32_e32 v14, 5, v0
	v_lshrrev_b32_e32 v10, 5, v10
	;; [unrolled: 1-line block ×5, first 2 shown]
	v_add_lshl_u32 v14, v14, v0, 3
	v_add_lshl_u32 v10, v10, v0, 3
	;; [unrolled: 1-line block ×5, first 2 shown]
	s_waitcnt lgkmcnt(0)
	s_add_u32 s0, s0, s4
	s_addc_u32 s1, s1, s5
	s_clause 0x1
	global_load_b128 v[1:4], v9, s[0:1]
	global_load_b128 v[5:8], v9, s[0:1] offset:16
	s_add_u32 s0, s2, s4
	s_addc_u32 s1, s3, s5
	s_waitcnt vmcnt(1)
	ds_store_b64 v14, v[1:2]
	ds_store_b64 v10, v[3:4] offset:2048
	s_waitcnt vmcnt(0)
	ds_store_b64 v11, v[5:6] offset:4096
	ds_store_b64 v0, v[7:8] offset:6144
	s_waitcnt lgkmcnt(0)
	s_barrier
	buffer_gl0_inv
	ds_load_2addr_b64 v[0:3], v12 offset1:1
	ds_load_2addr_b64 v[4:7], v12 offset0:2 offset1:3
	s_waitcnt lgkmcnt(1)
	global_store_b128 v9, v[0:3], s[0:1]
	s_waitcnt lgkmcnt(0)
	global_store_b128 v9, v[4:7], s[0:1] offset:16
	s_nop 0
	s_sendmsg sendmsg(MSG_DEALLOC_VGPRS)
	s_endpgm
	.section	.rodata,"a",@progbits
	.p2align	6, 0x0
	.amdhsa_kernel _Z25striped_to_blocked_kernelIxxLj1024ELj4EEvPT_PT0_
		.amdhsa_group_segment_fixed_size 8448
		.amdhsa_private_segment_fixed_size 0
		.amdhsa_kernarg_size 16
		.amdhsa_user_sgpr_count 15
		.amdhsa_user_sgpr_dispatch_ptr 0
		.amdhsa_user_sgpr_queue_ptr 0
		.amdhsa_user_sgpr_kernarg_segment_ptr 1
		.amdhsa_user_sgpr_dispatch_id 0
		.amdhsa_user_sgpr_private_segment_size 0
		.amdhsa_wavefront_size32 1
		.amdhsa_uses_dynamic_stack 0
		.amdhsa_enable_private_segment 0
		.amdhsa_system_sgpr_workgroup_id_x 1
		.amdhsa_system_sgpr_workgroup_id_y 0
		.amdhsa_system_sgpr_workgroup_id_z 0
		.amdhsa_system_sgpr_workgroup_info 0
		.amdhsa_system_vgpr_workitem_id 0
		.amdhsa_next_free_vgpr 16
		.amdhsa_next_free_sgpr 16
		.amdhsa_reserve_vcc 0
		.amdhsa_float_round_mode_32 0
		.amdhsa_float_round_mode_16_64 0
		.amdhsa_float_denorm_mode_32 3
		.amdhsa_float_denorm_mode_16_64 3
		.amdhsa_dx10_clamp 1
		.amdhsa_ieee_mode 1
		.amdhsa_fp16_overflow 0
		.amdhsa_workgroup_processor_mode 1
		.amdhsa_memory_ordered 1
		.amdhsa_forward_progress 0
		.amdhsa_shared_vgpr_count 0
		.amdhsa_exception_fp_ieee_invalid_op 0
		.amdhsa_exception_fp_denorm_src 0
		.amdhsa_exception_fp_ieee_div_zero 0
		.amdhsa_exception_fp_ieee_overflow 0
		.amdhsa_exception_fp_ieee_underflow 0
		.amdhsa_exception_fp_ieee_inexact 0
		.amdhsa_exception_int_div_zero 0
	.end_amdhsa_kernel
	.section	.text._Z25striped_to_blocked_kernelIxxLj1024ELj4EEvPT_PT0_,"axG",@progbits,_Z25striped_to_blocked_kernelIxxLj1024ELj4EEvPT_PT0_,comdat
.Lfunc_end28:
	.size	_Z25striped_to_blocked_kernelIxxLj1024ELj4EEvPT_PT0_, .Lfunc_end28-_Z25striped_to_blocked_kernelIxxLj1024ELj4EEvPT_PT0_
                                        ; -- End function
	.section	.AMDGPU.csdata,"",@progbits
; Kernel info:
; codeLenInByte = 260
; NumSgprs: 16
; NumVgprs: 16
; ScratchSize: 0
; MemoryBound: 0
; FloatMode: 240
; IeeeMode: 1
; LDSByteSize: 8448 bytes/workgroup (compile time only)
; SGPRBlocks: 1
; VGPRBlocks: 1
; NumSGPRsForWavesPerEU: 16
; NumVGPRsForWavesPerEU: 16
; Occupancy: 16
; WaveLimiterHint : 0
; COMPUTE_PGM_RSRC2:SCRATCH_EN: 0
; COMPUTE_PGM_RSRC2:USER_SGPR: 15
; COMPUTE_PGM_RSRC2:TRAP_HANDLER: 0
; COMPUTE_PGM_RSRC2:TGID_X_EN: 1
; COMPUTE_PGM_RSRC2:TGID_Y_EN: 0
; COMPUTE_PGM_RSRC2:TGID_Z_EN: 0
; COMPUTE_PGM_RSRC2:TIDIG_COMP_CNT: 0
	.section	.text._Z25striped_to_blocked_kernelIiiLj128ELj2EEvPT_PT0_,"axG",@progbits,_Z25striped_to_blocked_kernelIiiLj128ELj2EEvPT_PT0_,comdat
	.protected	_Z25striped_to_blocked_kernelIiiLj128ELj2EEvPT_PT0_ ; -- Begin function _Z25striped_to_blocked_kernelIiiLj128ELj2EEvPT_PT0_
	.globl	_Z25striped_to_blocked_kernelIiiLj128ELj2EEvPT_PT0_
	.p2align	8
	.type	_Z25striped_to_blocked_kernelIiiLj128ELj2EEvPT_PT0_,@function
_Z25striped_to_blocked_kernelIiiLj128ELj2EEvPT_PT0_: ; @_Z25striped_to_blocked_kernelIiiLj128ELj2EEvPT_PT0_
; %bb.0:
	s_load_b128 s[0:3], s[0:1], 0x0
	s_mov_b32 s5, 0
	s_lshl_b32 s4, s15, 7
	v_lshlrev_b32_e32 v3, 3, v0
	s_lshl_b64 s[4:5], s[4:5], 2
	v_add_nc_u32_e32 v4, 64, v0
	v_lshrrev_b32_e32 v5, 5, v0
	v_lshlrev_b32_e32 v6, 1, v0
	v_lshrrev_b32_e32 v7, 4, v0
	s_delay_alu instid0(VALU_DEP_4) | instskip(NEXT) | instid1(VALU_DEP_4)
	v_lshrrev_b32_e32 v4, 5, v4
	v_add_lshl_u32 v5, v5, v0, 2
	s_delay_alu instid0(VALU_DEP_2) | instskip(NEXT) | instid1(VALU_DEP_4)
	v_add_lshl_u32 v0, v4, v0, 2
	v_add_lshl_u32 v4, v7, v6, 2
	s_waitcnt lgkmcnt(0)
	s_add_u32 s0, s0, s4
	s_addc_u32 s1, s1, s5
	global_load_b64 v[1:2], v3, s[0:1]
	s_add_u32 s0, s2, s4
	s_addc_u32 s1, s3, s5
	s_waitcnt vmcnt(0)
	ds_store_b32 v5, v1
	ds_store_b32 v0, v2 offset:256
	s_waitcnt lgkmcnt(0)
	s_barrier
	buffer_gl0_inv
	ds_load_2addr_b32 v[0:1], v4 offset1:1
	s_waitcnt lgkmcnt(0)
	global_store_b64 v3, v[0:1], s[0:1]
	s_nop 0
	s_sendmsg sendmsg(MSG_DEALLOC_VGPRS)
	s_endpgm
	.section	.rodata,"a",@progbits
	.p2align	6, 0x0
	.amdhsa_kernel _Z25striped_to_blocked_kernelIiiLj128ELj2EEvPT_PT0_
		.amdhsa_group_segment_fixed_size 528
		.amdhsa_private_segment_fixed_size 0
		.amdhsa_kernarg_size 16
		.amdhsa_user_sgpr_count 15
		.amdhsa_user_sgpr_dispatch_ptr 0
		.amdhsa_user_sgpr_queue_ptr 0
		.amdhsa_user_sgpr_kernarg_segment_ptr 1
		.amdhsa_user_sgpr_dispatch_id 0
		.amdhsa_user_sgpr_private_segment_size 0
		.amdhsa_wavefront_size32 1
		.amdhsa_uses_dynamic_stack 0
		.amdhsa_enable_private_segment 0
		.amdhsa_system_sgpr_workgroup_id_x 1
		.amdhsa_system_sgpr_workgroup_id_y 0
		.amdhsa_system_sgpr_workgroup_id_z 0
		.amdhsa_system_sgpr_workgroup_info 0
		.amdhsa_system_vgpr_workitem_id 0
		.amdhsa_next_free_vgpr 8
		.amdhsa_next_free_sgpr 16
		.amdhsa_reserve_vcc 0
		.amdhsa_float_round_mode_32 0
		.amdhsa_float_round_mode_16_64 0
		.amdhsa_float_denorm_mode_32 3
		.amdhsa_float_denorm_mode_16_64 3
		.amdhsa_dx10_clamp 1
		.amdhsa_ieee_mode 1
		.amdhsa_fp16_overflow 0
		.amdhsa_workgroup_processor_mode 1
		.amdhsa_memory_ordered 1
		.amdhsa_forward_progress 0
		.amdhsa_shared_vgpr_count 0
		.amdhsa_exception_fp_ieee_invalid_op 0
		.amdhsa_exception_fp_denorm_src 0
		.amdhsa_exception_fp_ieee_div_zero 0
		.amdhsa_exception_fp_ieee_overflow 0
		.amdhsa_exception_fp_ieee_underflow 0
		.amdhsa_exception_fp_ieee_inexact 0
		.amdhsa_exception_int_div_zero 0
	.end_amdhsa_kernel
	.section	.text._Z25striped_to_blocked_kernelIiiLj128ELj2EEvPT_PT0_,"axG",@progbits,_Z25striped_to_blocked_kernelIiiLj128ELj2EEvPT_PT0_,comdat
.Lfunc_end29:
	.size	_Z25striped_to_blocked_kernelIiiLj128ELj2EEvPT_PT0_, .Lfunc_end29-_Z25striped_to_blocked_kernelIiiLj128ELj2EEvPT_PT0_
                                        ; -- End function
	.section	.AMDGPU.csdata,"",@progbits
; Kernel info:
; codeLenInByte = 172
; NumSgprs: 16
; NumVgprs: 8
; ScratchSize: 0
; MemoryBound: 0
; FloatMode: 240
; IeeeMode: 1
; LDSByteSize: 528 bytes/workgroup (compile time only)
; SGPRBlocks: 1
; VGPRBlocks: 0
; NumSGPRsForWavesPerEU: 16
; NumVGPRsForWavesPerEU: 8
; Occupancy: 16
; WaveLimiterHint : 0
; COMPUTE_PGM_RSRC2:SCRATCH_EN: 0
; COMPUTE_PGM_RSRC2:USER_SGPR: 15
; COMPUTE_PGM_RSRC2:TRAP_HANDLER: 0
; COMPUTE_PGM_RSRC2:TGID_X_EN: 1
; COMPUTE_PGM_RSRC2:TGID_Y_EN: 0
; COMPUTE_PGM_RSRC2:TGID_Z_EN: 0
; COMPUTE_PGM_RSRC2:TIDIG_COMP_CNT: 0
	.section	.text._Z25striped_to_blocked_kernelIxxLj512ELj1EEvPT_PT0_,"axG",@progbits,_Z25striped_to_blocked_kernelIxxLj512ELj1EEvPT_PT0_,comdat
	.protected	_Z25striped_to_blocked_kernelIxxLj512ELj1EEvPT_PT0_ ; -- Begin function _Z25striped_to_blocked_kernelIxxLj512ELj1EEvPT_PT0_
	.globl	_Z25striped_to_blocked_kernelIxxLj512ELj1EEvPT_PT0_
	.p2align	8
	.type	_Z25striped_to_blocked_kernelIxxLj512ELj1EEvPT_PT0_,@function
_Z25striped_to_blocked_kernelIxxLj512ELj1EEvPT_PT0_: ; @_Z25striped_to_blocked_kernelIxxLj512ELj1EEvPT_PT0_
; %bb.0:
	s_load_b128 s[0:3], s[0:1], 0x0
	s_mov_b32 s5, 0
	s_lshl_b32 s4, s15, 9
	v_lshlrev_b32_e32 v2, 3, v0
	s_lshl_b64 s[4:5], s[4:5], 3
	s_waitcnt lgkmcnt(0)
	s_add_u32 s0, s0, s4
	s_addc_u32 s1, s1, s5
	global_load_b64 v[0:1], v2, s[0:1]
	s_add_u32 s0, s2, s4
	s_addc_u32 s1, s3, s5
	s_waitcnt vmcnt(0)
	ds_store_b64 v2, v[0:1]
	s_waitcnt lgkmcnt(0)
	s_barrier
	buffer_gl0_inv
	ds_load_b64 v[0:1], v2
	s_waitcnt lgkmcnt(0)
	global_store_b64 v2, v[0:1], s[0:1]
	s_nop 0
	s_sendmsg sendmsg(MSG_DEALLOC_VGPRS)
	s_endpgm
	.section	.rodata,"a",@progbits
	.p2align	6, 0x0
	.amdhsa_kernel _Z25striped_to_blocked_kernelIxxLj512ELj1EEvPT_PT0_
		.amdhsa_group_segment_fixed_size 4096
		.amdhsa_private_segment_fixed_size 0
		.amdhsa_kernarg_size 16
		.amdhsa_user_sgpr_count 15
		.amdhsa_user_sgpr_dispatch_ptr 0
		.amdhsa_user_sgpr_queue_ptr 0
		.amdhsa_user_sgpr_kernarg_segment_ptr 1
		.amdhsa_user_sgpr_dispatch_id 0
		.amdhsa_user_sgpr_private_segment_size 0
		.amdhsa_wavefront_size32 1
		.amdhsa_uses_dynamic_stack 0
		.amdhsa_enable_private_segment 0
		.amdhsa_system_sgpr_workgroup_id_x 1
		.amdhsa_system_sgpr_workgroup_id_y 0
		.amdhsa_system_sgpr_workgroup_id_z 0
		.amdhsa_system_sgpr_workgroup_info 0
		.amdhsa_system_vgpr_workitem_id 0
		.amdhsa_next_free_vgpr 3
		.amdhsa_next_free_sgpr 16
		.amdhsa_reserve_vcc 0
		.amdhsa_float_round_mode_32 0
		.amdhsa_float_round_mode_16_64 0
		.amdhsa_float_denorm_mode_32 3
		.amdhsa_float_denorm_mode_16_64 3
		.amdhsa_dx10_clamp 1
		.amdhsa_ieee_mode 1
		.amdhsa_fp16_overflow 0
		.amdhsa_workgroup_processor_mode 1
		.amdhsa_memory_ordered 1
		.amdhsa_forward_progress 0
		.amdhsa_shared_vgpr_count 0
		.amdhsa_exception_fp_ieee_invalid_op 0
		.amdhsa_exception_fp_denorm_src 0
		.amdhsa_exception_fp_ieee_div_zero 0
		.amdhsa_exception_fp_ieee_overflow 0
		.amdhsa_exception_fp_ieee_underflow 0
		.amdhsa_exception_fp_ieee_inexact 0
		.amdhsa_exception_int_div_zero 0
	.end_amdhsa_kernel
	.section	.text._Z25striped_to_blocked_kernelIxxLj512ELj1EEvPT_PT0_,"axG",@progbits,_Z25striped_to_blocked_kernelIxxLj512ELj1EEvPT_PT0_,comdat
.Lfunc_end30:
	.size	_Z25striped_to_blocked_kernelIxxLj512ELj1EEvPT_PT0_, .Lfunc_end30-_Z25striped_to_blocked_kernelIxxLj512ELj1EEvPT_PT0_
                                        ; -- End function
	.section	.AMDGPU.csdata,"",@progbits
; Kernel info:
; codeLenInByte = 112
; NumSgprs: 16
; NumVgprs: 3
; ScratchSize: 0
; MemoryBound: 0
; FloatMode: 240
; IeeeMode: 1
; LDSByteSize: 4096 bytes/workgroup (compile time only)
; SGPRBlocks: 1
; VGPRBlocks: 0
; NumSGPRsForWavesPerEU: 16
; NumVGPRsForWavesPerEU: 3
; Occupancy: 16
; WaveLimiterHint : 0
; COMPUTE_PGM_RSRC2:SCRATCH_EN: 0
; COMPUTE_PGM_RSRC2:USER_SGPR: 15
; COMPUTE_PGM_RSRC2:TRAP_HANDLER: 0
; COMPUTE_PGM_RSRC2:TGID_X_EN: 1
; COMPUTE_PGM_RSRC2:TGID_Y_EN: 0
; COMPUTE_PGM_RSRC2:TGID_Z_EN: 0
; COMPUTE_PGM_RSRC2:TIDIG_COMP_CNT: 0
	.section	.text._Z25striped_to_blocked_kernelIs5dummyIiELj256ELj1EEvPT_PT0_,"axG",@progbits,_Z25striped_to_blocked_kernelIs5dummyIiELj256ELj1EEvPT_PT0_,comdat
	.protected	_Z25striped_to_blocked_kernelIs5dummyIiELj256ELj1EEvPT_PT0_ ; -- Begin function _Z25striped_to_blocked_kernelIs5dummyIiELj256ELj1EEvPT_PT0_
	.globl	_Z25striped_to_blocked_kernelIs5dummyIiELj256ELj1EEvPT_PT0_
	.p2align	8
	.type	_Z25striped_to_blocked_kernelIs5dummyIiELj256ELj1EEvPT_PT0_,@function
_Z25striped_to_blocked_kernelIs5dummyIiELj256ELj1EEvPT_PT0_: ; @_Z25striped_to_blocked_kernelIs5dummyIiELj256ELj1EEvPT_PT0_
; %bb.0:
	s_load_b128 s[0:3], s[0:1], 0x0
	s_mov_b32 s5, 0
	s_lshl_b32 s4, s15, 8
	v_lshlrev_b32_e32 v1, 1, v0
	s_lshl_b64 s[6:7], s[4:5], 1
	v_lshlrev_b32_e32 v0, 3, v0
	s_waitcnt lgkmcnt(0)
	s_add_u32 s0, s0, s6
	s_addc_u32 s1, s1, s7
	global_load_u16 v2, v1, s[0:1]
	s_lshl_b64 s[0:1], s[4:5], 3
	s_delay_alu instid0(SALU_CYCLE_1)
	s_add_u32 s0, s2, s0
	s_addc_u32 s1, s3, s1
	s_waitcnt vmcnt(0)
	ds_store_b16 v1, v2
	s_waitcnt lgkmcnt(0)
	s_barrier
	buffer_gl0_inv
	ds_load_i16 v1, v1
	s_waitcnt lgkmcnt(0)
	v_lshlrev_b32_e32 v2, 1, v1
	v_add_nc_u32_e32 v1, 1, v1
	global_store_b64 v0, v[1:2], s[0:1]
	s_nop 0
	s_sendmsg sendmsg(MSG_DEALLOC_VGPRS)
	s_endpgm
	.section	.rodata,"a",@progbits
	.p2align	6, 0x0
	.amdhsa_kernel _Z25striped_to_blocked_kernelIs5dummyIiELj256ELj1EEvPT_PT0_
		.amdhsa_group_segment_fixed_size 512
		.amdhsa_private_segment_fixed_size 0
		.amdhsa_kernarg_size 16
		.amdhsa_user_sgpr_count 15
		.amdhsa_user_sgpr_dispatch_ptr 0
		.amdhsa_user_sgpr_queue_ptr 0
		.amdhsa_user_sgpr_kernarg_segment_ptr 1
		.amdhsa_user_sgpr_dispatch_id 0
		.amdhsa_user_sgpr_private_segment_size 0
		.amdhsa_wavefront_size32 1
		.amdhsa_uses_dynamic_stack 0
		.amdhsa_enable_private_segment 0
		.amdhsa_system_sgpr_workgroup_id_x 1
		.amdhsa_system_sgpr_workgroup_id_y 0
		.amdhsa_system_sgpr_workgroup_id_z 0
		.amdhsa_system_sgpr_workgroup_info 0
		.amdhsa_system_vgpr_workitem_id 0
		.amdhsa_next_free_vgpr 3
		.amdhsa_next_free_sgpr 16
		.amdhsa_reserve_vcc 0
		.amdhsa_float_round_mode_32 0
		.amdhsa_float_round_mode_16_64 0
		.amdhsa_float_denorm_mode_32 3
		.amdhsa_float_denorm_mode_16_64 3
		.amdhsa_dx10_clamp 1
		.amdhsa_ieee_mode 1
		.amdhsa_fp16_overflow 0
		.amdhsa_workgroup_processor_mode 1
		.amdhsa_memory_ordered 1
		.amdhsa_forward_progress 0
		.amdhsa_shared_vgpr_count 0
		.amdhsa_exception_fp_ieee_invalid_op 0
		.amdhsa_exception_fp_denorm_src 0
		.amdhsa_exception_fp_ieee_div_zero 0
		.amdhsa_exception_fp_ieee_overflow 0
		.amdhsa_exception_fp_ieee_underflow 0
		.amdhsa_exception_fp_ieee_inexact 0
		.amdhsa_exception_int_div_zero 0
	.end_amdhsa_kernel
	.section	.text._Z25striped_to_blocked_kernelIs5dummyIiELj256ELj1EEvPT_PT0_,"axG",@progbits,_Z25striped_to_blocked_kernelIs5dummyIiELj256ELj1EEvPT_PT0_,comdat
.Lfunc_end31:
	.size	_Z25striped_to_blocked_kernelIs5dummyIiELj256ELj1EEvPT_PT0_, .Lfunc_end31-_Z25striped_to_blocked_kernelIs5dummyIiELj256ELj1EEvPT_PT0_
                                        ; -- End function
	.section	.AMDGPU.csdata,"",@progbits
; Kernel info:
; codeLenInByte = 132
; NumSgprs: 16
; NumVgprs: 3
; ScratchSize: 0
; MemoryBound: 0
; FloatMode: 240
; IeeeMode: 1
; LDSByteSize: 512 bytes/workgroup (compile time only)
; SGPRBlocks: 1
; VGPRBlocks: 0
; NumSGPRsForWavesPerEU: 16
; NumVGPRsForWavesPerEU: 3
; Occupancy: 16
; WaveLimiterHint : 0
; COMPUTE_PGM_RSRC2:SCRATCH_EN: 0
; COMPUTE_PGM_RSRC2:USER_SGPR: 15
; COMPUTE_PGM_RSRC2:TRAP_HANDLER: 0
; COMPUTE_PGM_RSRC2:TGID_X_EN: 1
; COMPUTE_PGM_RSRC2:TGID_Y_EN: 0
; COMPUTE_PGM_RSRC2:TGID_Z_EN: 0
; COMPUTE_PGM_RSRC2:TIDIG_COMP_CNT: 0
	.section	.text._Z25striped_to_blocked_kernelIyyLj128ELj1EEvPT_PT0_,"axG",@progbits,_Z25striped_to_blocked_kernelIyyLj128ELj1EEvPT_PT0_,comdat
	.protected	_Z25striped_to_blocked_kernelIyyLj128ELj1EEvPT_PT0_ ; -- Begin function _Z25striped_to_blocked_kernelIyyLj128ELj1EEvPT_PT0_
	.globl	_Z25striped_to_blocked_kernelIyyLj128ELj1EEvPT_PT0_
	.p2align	8
	.type	_Z25striped_to_blocked_kernelIyyLj128ELj1EEvPT_PT0_,@function
_Z25striped_to_blocked_kernelIyyLj128ELj1EEvPT_PT0_: ; @_Z25striped_to_blocked_kernelIyyLj128ELj1EEvPT_PT0_
; %bb.0:
	s_load_b128 s[0:3], s[0:1], 0x0
	s_mov_b32 s5, 0
	s_lshl_b32 s4, s15, 7
	v_lshlrev_b32_e32 v2, 3, v0
	s_lshl_b64 s[4:5], s[4:5], 3
	s_waitcnt lgkmcnt(0)
	s_add_u32 s0, s0, s4
	s_addc_u32 s1, s1, s5
	global_load_b64 v[0:1], v2, s[0:1]
	s_add_u32 s0, s2, s4
	s_addc_u32 s1, s3, s5
	s_waitcnt vmcnt(0)
	ds_store_b64 v2, v[0:1]
	s_waitcnt lgkmcnt(0)
	s_barrier
	buffer_gl0_inv
	ds_load_b64 v[0:1], v2
	s_waitcnt lgkmcnt(0)
	global_store_b64 v2, v[0:1], s[0:1]
	s_nop 0
	s_sendmsg sendmsg(MSG_DEALLOC_VGPRS)
	s_endpgm
	.section	.rodata,"a",@progbits
	.p2align	6, 0x0
	.amdhsa_kernel _Z25striped_to_blocked_kernelIyyLj128ELj1EEvPT_PT0_
		.amdhsa_group_segment_fixed_size 1024
		.amdhsa_private_segment_fixed_size 0
		.amdhsa_kernarg_size 16
		.amdhsa_user_sgpr_count 15
		.amdhsa_user_sgpr_dispatch_ptr 0
		.amdhsa_user_sgpr_queue_ptr 0
		.amdhsa_user_sgpr_kernarg_segment_ptr 1
		.amdhsa_user_sgpr_dispatch_id 0
		.amdhsa_user_sgpr_private_segment_size 0
		.amdhsa_wavefront_size32 1
		.amdhsa_uses_dynamic_stack 0
		.amdhsa_enable_private_segment 0
		.amdhsa_system_sgpr_workgroup_id_x 1
		.amdhsa_system_sgpr_workgroup_id_y 0
		.amdhsa_system_sgpr_workgroup_id_z 0
		.amdhsa_system_sgpr_workgroup_info 0
		.amdhsa_system_vgpr_workitem_id 0
		.amdhsa_next_free_vgpr 3
		.amdhsa_next_free_sgpr 16
		.amdhsa_reserve_vcc 0
		.amdhsa_float_round_mode_32 0
		.amdhsa_float_round_mode_16_64 0
		.amdhsa_float_denorm_mode_32 3
		.amdhsa_float_denorm_mode_16_64 3
		.amdhsa_dx10_clamp 1
		.amdhsa_ieee_mode 1
		.amdhsa_fp16_overflow 0
		.amdhsa_workgroup_processor_mode 1
		.amdhsa_memory_ordered 1
		.amdhsa_forward_progress 0
		.amdhsa_shared_vgpr_count 0
		.amdhsa_exception_fp_ieee_invalid_op 0
		.amdhsa_exception_fp_denorm_src 0
		.amdhsa_exception_fp_ieee_div_zero 0
		.amdhsa_exception_fp_ieee_overflow 0
		.amdhsa_exception_fp_ieee_underflow 0
		.amdhsa_exception_fp_ieee_inexact 0
		.amdhsa_exception_int_div_zero 0
	.end_amdhsa_kernel
	.section	.text._Z25striped_to_blocked_kernelIyyLj128ELj1EEvPT_PT0_,"axG",@progbits,_Z25striped_to_blocked_kernelIyyLj128ELj1EEvPT_PT0_,comdat
.Lfunc_end32:
	.size	_Z25striped_to_blocked_kernelIyyLj128ELj1EEvPT_PT0_, .Lfunc_end32-_Z25striped_to_blocked_kernelIyyLj128ELj1EEvPT_PT0_
                                        ; -- End function
	.section	.AMDGPU.csdata,"",@progbits
; Kernel info:
; codeLenInByte = 112
; NumSgprs: 16
; NumVgprs: 3
; ScratchSize: 0
; MemoryBound: 0
; FloatMode: 240
; IeeeMode: 1
; LDSByteSize: 1024 bytes/workgroup (compile time only)
; SGPRBlocks: 1
; VGPRBlocks: 0
; NumSGPRsForWavesPerEU: 16
; NumVGPRsForWavesPerEU: 3
; Occupancy: 16
; WaveLimiterHint : 0
; COMPUTE_PGM_RSRC2:SCRATCH_EN: 0
; COMPUTE_PGM_RSRC2:USER_SGPR: 15
; COMPUTE_PGM_RSRC2:TRAP_HANDLER: 0
; COMPUTE_PGM_RSRC2:TGID_X_EN: 1
; COMPUTE_PGM_RSRC2:TGID_Y_EN: 0
; COMPUTE_PGM_RSRC2:TGID_Z_EN: 0
; COMPUTE_PGM_RSRC2:TIDIG_COMP_CNT: 0
	.section	.text._Z25striped_to_blocked_kernelIixLj64ELj1EEvPT_PT0_,"axG",@progbits,_Z25striped_to_blocked_kernelIixLj64ELj1EEvPT_PT0_,comdat
	.protected	_Z25striped_to_blocked_kernelIixLj64ELj1EEvPT_PT0_ ; -- Begin function _Z25striped_to_blocked_kernelIixLj64ELj1EEvPT_PT0_
	.globl	_Z25striped_to_blocked_kernelIixLj64ELj1EEvPT_PT0_
	.p2align	8
	.type	_Z25striped_to_blocked_kernelIixLj64ELj1EEvPT_PT0_,@function
_Z25striped_to_blocked_kernelIixLj64ELj1EEvPT_PT0_: ; @_Z25striped_to_blocked_kernelIixLj64ELj1EEvPT_PT0_
; %bb.0:
	s_load_b128 s[0:3], s[0:1], 0x0
	s_mov_b32 s5, 0
	s_lshl_b32 s4, s15, 6
	v_lshlrev_b32_e32 v1, 2, v0
	s_lshl_b64 s[6:7], s[4:5], 2
	v_lshlrev_b32_e32 v0, 3, v0
	s_waitcnt lgkmcnt(0)
	s_add_u32 s0, s0, s6
	s_addc_u32 s1, s1, s7
	global_load_b32 v2, v1, s[0:1]
	s_lshl_b64 s[0:1], s[4:5], 3
	s_delay_alu instid0(SALU_CYCLE_1)
	s_add_u32 s0, s2, s0
	s_addc_u32 s1, s3, s1
	s_waitcnt vmcnt(0)
	ds_store_b32 v1, v2
	s_waitcnt lgkmcnt(0)
	s_barrier
	buffer_gl0_inv
	ds_load_b32 v1, v1
	s_waitcnt lgkmcnt(0)
	v_ashrrev_i32_e32 v2, 31, v1
	global_store_b64 v0, v[1:2], s[0:1]
	s_nop 0
	s_sendmsg sendmsg(MSG_DEALLOC_VGPRS)
	s_endpgm
	.section	.rodata,"a",@progbits
	.p2align	6, 0x0
	.amdhsa_kernel _Z25striped_to_blocked_kernelIixLj64ELj1EEvPT_PT0_
		.amdhsa_group_segment_fixed_size 256
		.amdhsa_private_segment_fixed_size 0
		.amdhsa_kernarg_size 16
		.amdhsa_user_sgpr_count 15
		.amdhsa_user_sgpr_dispatch_ptr 0
		.amdhsa_user_sgpr_queue_ptr 0
		.amdhsa_user_sgpr_kernarg_segment_ptr 1
		.amdhsa_user_sgpr_dispatch_id 0
		.amdhsa_user_sgpr_private_segment_size 0
		.amdhsa_wavefront_size32 1
		.amdhsa_uses_dynamic_stack 0
		.amdhsa_enable_private_segment 0
		.amdhsa_system_sgpr_workgroup_id_x 1
		.amdhsa_system_sgpr_workgroup_id_y 0
		.amdhsa_system_sgpr_workgroup_id_z 0
		.amdhsa_system_sgpr_workgroup_info 0
		.amdhsa_system_vgpr_workitem_id 0
		.amdhsa_next_free_vgpr 3
		.amdhsa_next_free_sgpr 16
		.amdhsa_reserve_vcc 0
		.amdhsa_float_round_mode_32 0
		.amdhsa_float_round_mode_16_64 0
		.amdhsa_float_denorm_mode_32 3
		.amdhsa_float_denorm_mode_16_64 3
		.amdhsa_dx10_clamp 1
		.amdhsa_ieee_mode 1
		.amdhsa_fp16_overflow 0
		.amdhsa_workgroup_processor_mode 1
		.amdhsa_memory_ordered 1
		.amdhsa_forward_progress 0
		.amdhsa_shared_vgpr_count 0
		.amdhsa_exception_fp_ieee_invalid_op 0
		.amdhsa_exception_fp_denorm_src 0
		.amdhsa_exception_fp_ieee_div_zero 0
		.amdhsa_exception_fp_ieee_overflow 0
		.amdhsa_exception_fp_ieee_underflow 0
		.amdhsa_exception_fp_ieee_inexact 0
		.amdhsa_exception_int_div_zero 0
	.end_amdhsa_kernel
	.section	.text._Z25striped_to_blocked_kernelIixLj64ELj1EEvPT_PT0_,"axG",@progbits,_Z25striped_to_blocked_kernelIixLj64ELj1EEvPT_PT0_,comdat
.Lfunc_end33:
	.size	_Z25striped_to_blocked_kernelIixLj64ELj1EEvPT_PT0_, .Lfunc_end33-_Z25striped_to_blocked_kernelIixLj64ELj1EEvPT_PT0_
                                        ; -- End function
	.section	.AMDGPU.csdata,"",@progbits
; Kernel info:
; codeLenInByte = 128
; NumSgprs: 16
; NumVgprs: 3
; ScratchSize: 0
; MemoryBound: 0
; FloatMode: 240
; IeeeMode: 1
; LDSByteSize: 256 bytes/workgroup (compile time only)
; SGPRBlocks: 1
; VGPRBlocks: 0
; NumSGPRsForWavesPerEU: 16
; NumVGPRsForWavesPerEU: 3
; Occupancy: 16
; WaveLimiterHint : 0
; COMPUTE_PGM_RSRC2:SCRATCH_EN: 0
; COMPUTE_PGM_RSRC2:USER_SGPR: 15
; COMPUTE_PGM_RSRC2:TRAP_HANDLER: 0
; COMPUTE_PGM_RSRC2:TGID_X_EN: 1
; COMPUTE_PGM_RSRC2:TGID_Y_EN: 0
; COMPUTE_PGM_RSRC2:TGID_Z_EN: 0
; COMPUTE_PGM_RSRC2:TIDIG_COMP_CNT: 0
	.section	.text._Z25striped_to_blocked_kernelI6__halfS0_Lj512ELj4EEvPT_PT0_,"axG",@progbits,_Z25striped_to_blocked_kernelI6__halfS0_Lj512ELj4EEvPT_PT0_,comdat
	.protected	_Z25striped_to_blocked_kernelI6__halfS0_Lj512ELj4EEvPT_PT0_ ; -- Begin function _Z25striped_to_blocked_kernelI6__halfS0_Lj512ELj4EEvPT_PT0_
	.globl	_Z25striped_to_blocked_kernelI6__halfS0_Lj512ELj4EEvPT_PT0_
	.p2align	8
	.type	_Z25striped_to_blocked_kernelI6__halfS0_Lj512ELj4EEvPT_PT0_,@function
_Z25striped_to_blocked_kernelI6__halfS0_Lj512ELj4EEvPT_PT0_: ; @_Z25striped_to_blocked_kernelI6__halfS0_Lj512ELj4EEvPT_PT0_
; %bb.0:
	s_load_b128 s[0:3], s[0:1], 0x0
	s_mov_b32 s5, 0
	s_lshl_b32 s4, s15, 9
	v_lshlrev_b32_e32 v3, 3, v0
	s_lshl_b64 s[4:5], s[4:5], 1
	v_add_nc_u32_e32 v4, 0x80, v0
	v_add_nc_u32_e32 v5, 0x100, v0
	;; [unrolled: 1-line block ×3, first 2 shown]
	v_lshrrev_b32_e32 v8, 5, v0
	v_lshrrev_b32_e32 v9, 3, v0
	;; [unrolled: 1-line block ×5, first 2 shown]
	v_lshlrev_b32_e32 v7, 2, v0
	v_and_b32_e32 v8, 14, v8
	v_and_b32_e32 v4, 30, v4
	;; [unrolled: 1-line block ×5, first 2 shown]
	v_add_lshl_u32 v8, v8, v0, 1
	s_waitcnt lgkmcnt(0)
	s_add_u32 s0, s0, s4
	s_addc_u32 s1, s1, s5
	v_add_lshl_u32 v4, v4, v0, 1
	global_load_b64 v[1:2], v3, s[0:1]
	v_add_lshl_u32 v5, v5, v0, 1
	v_add_lshl_u32 v0, v6, v0, 1
	;; [unrolled: 1-line block ×3, first 2 shown]
	s_add_u32 s0, s2, s4
	s_addc_u32 s1, s3, s5
	s_waitcnt vmcnt(0)
	ds_store_b16 v8, v1
	ds_store_b16_d16_hi v4, v1 offset:256
	ds_store_b16 v5, v2 offset:512
	ds_store_b16_d16_hi v0, v2 offset:768
	s_waitcnt lgkmcnt(0)
	s_barrier
	buffer_gl0_inv
	ds_load_b64 v[0:1], v6
	s_waitcnt lgkmcnt(0)
	global_store_b64 v3, v[0:1], s[0:1]
	s_nop 0
	s_sendmsg sendmsg(MSG_DEALLOC_VGPRS)
	s_endpgm
	.section	.rodata,"a",@progbits
	.p2align	6, 0x0
	.amdhsa_kernel _Z25striped_to_blocked_kernelI6__halfS0_Lj512ELj4EEvPT_PT0_
		.amdhsa_group_segment_fixed_size 1056
		.amdhsa_private_segment_fixed_size 0
		.amdhsa_kernarg_size 16
		.amdhsa_user_sgpr_count 15
		.amdhsa_user_sgpr_dispatch_ptr 0
		.amdhsa_user_sgpr_queue_ptr 0
		.amdhsa_user_sgpr_kernarg_segment_ptr 1
		.amdhsa_user_sgpr_dispatch_id 0
		.amdhsa_user_sgpr_private_segment_size 0
		.amdhsa_wavefront_size32 1
		.amdhsa_uses_dynamic_stack 0
		.amdhsa_enable_private_segment 0
		.amdhsa_system_sgpr_workgroup_id_x 1
		.amdhsa_system_sgpr_workgroup_id_y 0
		.amdhsa_system_sgpr_workgroup_id_z 0
		.amdhsa_system_sgpr_workgroup_info 0
		.amdhsa_system_vgpr_workitem_id 0
		.amdhsa_next_free_vgpr 10
		.amdhsa_next_free_sgpr 16
		.amdhsa_reserve_vcc 0
		.amdhsa_float_round_mode_32 0
		.amdhsa_float_round_mode_16_64 0
		.amdhsa_float_denorm_mode_32 3
		.amdhsa_float_denorm_mode_16_64 3
		.amdhsa_dx10_clamp 1
		.amdhsa_ieee_mode 1
		.amdhsa_fp16_overflow 0
		.amdhsa_workgroup_processor_mode 1
		.amdhsa_memory_ordered 1
		.amdhsa_forward_progress 0
		.amdhsa_shared_vgpr_count 0
		.amdhsa_exception_fp_ieee_invalid_op 0
		.amdhsa_exception_fp_denorm_src 0
		.amdhsa_exception_fp_ieee_div_zero 0
		.amdhsa_exception_fp_ieee_overflow 0
		.amdhsa_exception_fp_ieee_underflow 0
		.amdhsa_exception_fp_ieee_inexact 0
		.amdhsa_exception_int_div_zero 0
	.end_amdhsa_kernel
	.section	.text._Z25striped_to_blocked_kernelI6__halfS0_Lj512ELj4EEvPT_PT0_,"axG",@progbits,_Z25striped_to_blocked_kernelI6__halfS0_Lj512ELj4EEvPT_PT0_,comdat
.Lfunc_end34:
	.size	_Z25striped_to_blocked_kernelI6__halfS0_Lj512ELj4EEvPT_PT0_, .Lfunc_end34-_Z25striped_to_blocked_kernelI6__halfS0_Lj512ELj4EEvPT_PT0_
                                        ; -- End function
	.section	.AMDGPU.csdata,"",@progbits
; Kernel info:
; codeLenInByte = 244
; NumSgprs: 16
; NumVgprs: 10
; ScratchSize: 0
; MemoryBound: 0
; FloatMode: 240
; IeeeMode: 1
; LDSByteSize: 1056 bytes/workgroup (compile time only)
; SGPRBlocks: 1
; VGPRBlocks: 1
; NumSGPRsForWavesPerEU: 16
; NumVGPRsForWavesPerEU: 10
; Occupancy: 16
; WaveLimiterHint : 0
; COMPUTE_PGM_RSRC2:SCRATCH_EN: 0
; COMPUTE_PGM_RSRC2:USER_SGPR: 15
; COMPUTE_PGM_RSRC2:TRAP_HANDLER: 0
; COMPUTE_PGM_RSRC2:TGID_X_EN: 1
; COMPUTE_PGM_RSRC2:TGID_Y_EN: 0
; COMPUTE_PGM_RSRC2:TGID_Z_EN: 0
; COMPUTE_PGM_RSRC2:TIDIG_COMP_CNT: 0
	.section	.text._Z25striped_to_blocked_kernelI12hip_bfloat16S0_Lj512ELj4EEvPT_PT0_,"axG",@progbits,_Z25striped_to_blocked_kernelI12hip_bfloat16S0_Lj512ELj4EEvPT_PT0_,comdat
	.protected	_Z25striped_to_blocked_kernelI12hip_bfloat16S0_Lj512ELj4EEvPT_PT0_ ; -- Begin function _Z25striped_to_blocked_kernelI12hip_bfloat16S0_Lj512ELj4EEvPT_PT0_
	.globl	_Z25striped_to_blocked_kernelI12hip_bfloat16S0_Lj512ELj4EEvPT_PT0_
	.p2align	8
	.type	_Z25striped_to_blocked_kernelI12hip_bfloat16S0_Lj512ELj4EEvPT_PT0_,@function
_Z25striped_to_blocked_kernelI12hip_bfloat16S0_Lj512ELj4EEvPT_PT0_: ; @_Z25striped_to_blocked_kernelI12hip_bfloat16S0_Lj512ELj4EEvPT_PT0_
; %bb.0:
	s_load_b128 s[0:3], s[0:1], 0x0
	s_mov_b32 s5, 0
	s_lshl_b32 s4, s15, 9
	v_lshlrev_b32_e32 v3, 3, v0
	s_lshl_b64 s[4:5], s[4:5], 1
	v_add_nc_u32_e32 v4, 0x80, v0
	v_add_nc_u32_e32 v5, 0x100, v0
	v_add_nc_u32_e32 v6, 0x180, v0
	v_lshrrev_b32_e32 v8, 5, v0
	v_lshrrev_b32_e32 v9, 3, v0
	;; [unrolled: 1-line block ×5, first 2 shown]
	v_lshlrev_b32_e32 v7, 2, v0
	v_and_b32_e32 v8, 14, v8
	v_and_b32_e32 v4, 30, v4
	;; [unrolled: 1-line block ×5, first 2 shown]
	v_add_lshl_u32 v8, v8, v0, 1
	s_waitcnt lgkmcnt(0)
	s_add_u32 s0, s0, s4
	s_addc_u32 s1, s1, s5
	v_add_lshl_u32 v4, v4, v0, 1
	global_load_b64 v[1:2], v3, s[0:1]
	v_add_lshl_u32 v5, v5, v0, 1
	v_add_lshl_u32 v0, v6, v0, 1
	;; [unrolled: 1-line block ×3, first 2 shown]
	s_add_u32 s0, s2, s4
	s_addc_u32 s1, s3, s5
	s_waitcnt vmcnt(0)
	ds_store_b16 v8, v1
	ds_store_b16_d16_hi v4, v1 offset:256
	ds_store_b16 v5, v2 offset:512
	ds_store_b16_d16_hi v0, v2 offset:768
	s_waitcnt lgkmcnt(0)
	s_barrier
	buffer_gl0_inv
	ds_load_b64 v[0:1], v6
	s_waitcnt lgkmcnt(0)
	global_store_b64 v3, v[0:1], s[0:1]
	s_nop 0
	s_sendmsg sendmsg(MSG_DEALLOC_VGPRS)
	s_endpgm
	.section	.rodata,"a",@progbits
	.p2align	6, 0x0
	.amdhsa_kernel _Z25striped_to_blocked_kernelI12hip_bfloat16S0_Lj512ELj4EEvPT_PT0_
		.amdhsa_group_segment_fixed_size 1056
		.amdhsa_private_segment_fixed_size 0
		.amdhsa_kernarg_size 16
		.amdhsa_user_sgpr_count 15
		.amdhsa_user_sgpr_dispatch_ptr 0
		.amdhsa_user_sgpr_queue_ptr 0
		.amdhsa_user_sgpr_kernarg_segment_ptr 1
		.amdhsa_user_sgpr_dispatch_id 0
		.amdhsa_user_sgpr_private_segment_size 0
		.amdhsa_wavefront_size32 1
		.amdhsa_uses_dynamic_stack 0
		.amdhsa_enable_private_segment 0
		.amdhsa_system_sgpr_workgroup_id_x 1
		.amdhsa_system_sgpr_workgroup_id_y 0
		.amdhsa_system_sgpr_workgroup_id_z 0
		.amdhsa_system_sgpr_workgroup_info 0
		.amdhsa_system_vgpr_workitem_id 0
		.amdhsa_next_free_vgpr 10
		.amdhsa_next_free_sgpr 16
		.amdhsa_reserve_vcc 0
		.amdhsa_float_round_mode_32 0
		.amdhsa_float_round_mode_16_64 0
		.amdhsa_float_denorm_mode_32 3
		.amdhsa_float_denorm_mode_16_64 3
		.amdhsa_dx10_clamp 1
		.amdhsa_ieee_mode 1
		.amdhsa_fp16_overflow 0
		.amdhsa_workgroup_processor_mode 1
		.amdhsa_memory_ordered 1
		.amdhsa_forward_progress 0
		.amdhsa_shared_vgpr_count 0
		.amdhsa_exception_fp_ieee_invalid_op 0
		.amdhsa_exception_fp_denorm_src 0
		.amdhsa_exception_fp_ieee_div_zero 0
		.amdhsa_exception_fp_ieee_overflow 0
		.amdhsa_exception_fp_ieee_underflow 0
		.amdhsa_exception_fp_ieee_inexact 0
		.amdhsa_exception_int_div_zero 0
	.end_amdhsa_kernel
	.section	.text._Z25striped_to_blocked_kernelI12hip_bfloat16S0_Lj512ELj4EEvPT_PT0_,"axG",@progbits,_Z25striped_to_blocked_kernelI12hip_bfloat16S0_Lj512ELj4EEvPT_PT0_,comdat
.Lfunc_end35:
	.size	_Z25striped_to_blocked_kernelI12hip_bfloat16S0_Lj512ELj4EEvPT_PT0_, .Lfunc_end35-_Z25striped_to_blocked_kernelI12hip_bfloat16S0_Lj512ELj4EEvPT_PT0_
                                        ; -- End function
	.section	.AMDGPU.csdata,"",@progbits
; Kernel info:
; codeLenInByte = 244
; NumSgprs: 16
; NumVgprs: 10
; ScratchSize: 0
; MemoryBound: 0
; FloatMode: 240
; IeeeMode: 1
; LDSByteSize: 1056 bytes/workgroup (compile time only)
; SGPRBlocks: 1
; VGPRBlocks: 1
; NumSGPRsForWavesPerEU: 16
; NumVGPRsForWavesPerEU: 10
; Occupancy: 16
; WaveLimiterHint : 0
; COMPUTE_PGM_RSRC2:SCRATCH_EN: 0
; COMPUTE_PGM_RSRC2:USER_SGPR: 15
; COMPUTE_PGM_RSRC2:TRAP_HANDLER: 0
; COMPUTE_PGM_RSRC2:TGID_X_EN: 1
; COMPUTE_PGM_RSRC2:TGID_Y_EN: 0
; COMPUTE_PGM_RSRC2:TGID_Z_EN: 0
; COMPUTE_PGM_RSRC2:TIDIG_COMP_CNT: 0
	.section	.text._Z25striped_to_blocked_kernelIfdLj512ELj4EEvPT_PT0_,"axG",@progbits,_Z25striped_to_blocked_kernelIfdLj512ELj4EEvPT_PT0_,comdat
	.protected	_Z25striped_to_blocked_kernelIfdLj512ELj4EEvPT_PT0_ ; -- Begin function _Z25striped_to_blocked_kernelIfdLj512ELj4EEvPT_PT0_
	.globl	_Z25striped_to_blocked_kernelIfdLj512ELj4EEvPT_PT0_
	.p2align	8
	.type	_Z25striped_to_blocked_kernelIfdLj512ELj4EEvPT_PT0_,@function
_Z25striped_to_blocked_kernelIfdLj512ELj4EEvPT_PT0_: ; @_Z25striped_to_blocked_kernelIfdLj512ELj4EEvPT_PT0_
; %bb.0:
	s_load_b128 s[0:3], s[0:1], 0x0
	s_mov_b32 s5, 0
	s_lshl_b32 s4, s15, 9
	v_lshlrev_b32_e32 v1, 4, v0
	s_lshl_b64 s[6:7], s[4:5], 2
	v_add_nc_u32_e32 v5, 0x80, v0
	v_add_nc_u32_e32 v6, 0x100, v0
	;; [unrolled: 1-line block ×3, first 2 shown]
	v_lshlrev_b32_e32 v8, 2, v0
	v_lshrrev_b32_e32 v9, 5, v0
	v_lshrrev_b32_e32 v10, 3, v0
	;; [unrolled: 1-line block ×5, first 2 shown]
	v_add_lshl_u32 v9, v9, v0, 2
	v_add_lshl_u32 v8, v10, v8, 2
	;; [unrolled: 1-line block ×5, first 2 shown]
	v_lshlrev_b32_e32 v0, 5, v0
	s_waitcnt lgkmcnt(0)
	s_add_u32 s0, s0, s6
	s_addc_u32 s1, s1, s7
	global_load_b128 v[1:4], v1, s[0:1]
	s_lshl_b64 s[0:1], s[4:5], 3
	s_waitcnt vmcnt(0)
	ds_store_b32 v9, v1
	ds_store_b32 v5, v2 offset:512
	ds_store_b32 v6, v3 offset:1024
	;; [unrolled: 1-line block ×3, first 2 shown]
	s_waitcnt lgkmcnt(0)
	s_barrier
	buffer_gl0_inv
	ds_load_2addr_b32 v[2:3], v8 offset1:1
	ds_load_2addr_b32 v[6:7], v8 offset0:2 offset1:3
	s_add_u32 s0, s2, s0
	s_addc_u32 s1, s3, s1
	s_waitcnt lgkmcnt(1)
	v_cvt_f64_f32_e32 v[1:2], v2
	v_cvt_f64_f32_e32 v[3:4], v3
	s_waitcnt lgkmcnt(0)
	v_cvt_f64_f32_e32 v[5:6], v6
	v_cvt_f64_f32_e32 v[7:8], v7
	s_clause 0x1
	global_store_b128 v0, v[1:4], s[0:1]
	global_store_b128 v0, v[5:8], s[0:1] offset:16
	s_nop 0
	s_sendmsg sendmsg(MSG_DEALLOC_VGPRS)
	s_endpgm
	.section	.rodata,"a",@progbits
	.p2align	6, 0x0
	.amdhsa_kernel _Z25striped_to_blocked_kernelIfdLj512ELj4EEvPT_PT0_
		.amdhsa_group_segment_fixed_size 2112
		.amdhsa_private_segment_fixed_size 0
		.amdhsa_kernarg_size 16
		.amdhsa_user_sgpr_count 15
		.amdhsa_user_sgpr_dispatch_ptr 0
		.amdhsa_user_sgpr_queue_ptr 0
		.amdhsa_user_sgpr_kernarg_segment_ptr 1
		.amdhsa_user_sgpr_dispatch_id 0
		.amdhsa_user_sgpr_private_segment_size 0
		.amdhsa_wavefront_size32 1
		.amdhsa_uses_dynamic_stack 0
		.amdhsa_enable_private_segment 0
		.amdhsa_system_sgpr_workgroup_id_x 1
		.amdhsa_system_sgpr_workgroup_id_y 0
		.amdhsa_system_sgpr_workgroup_id_z 0
		.amdhsa_system_sgpr_workgroup_info 0
		.amdhsa_system_vgpr_workitem_id 0
		.amdhsa_next_free_vgpr 11
		.amdhsa_next_free_sgpr 16
		.amdhsa_reserve_vcc 0
		.amdhsa_float_round_mode_32 0
		.amdhsa_float_round_mode_16_64 0
		.amdhsa_float_denorm_mode_32 3
		.amdhsa_float_denorm_mode_16_64 3
		.amdhsa_dx10_clamp 1
		.amdhsa_ieee_mode 1
		.amdhsa_fp16_overflow 0
		.amdhsa_workgroup_processor_mode 1
		.amdhsa_memory_ordered 1
		.amdhsa_forward_progress 0
		.amdhsa_shared_vgpr_count 0
		.amdhsa_exception_fp_ieee_invalid_op 0
		.amdhsa_exception_fp_denorm_src 0
		.amdhsa_exception_fp_ieee_div_zero 0
		.amdhsa_exception_fp_ieee_overflow 0
		.amdhsa_exception_fp_ieee_underflow 0
		.amdhsa_exception_fp_ieee_inexact 0
		.amdhsa_exception_int_div_zero 0
	.end_amdhsa_kernel
	.section	.text._Z25striped_to_blocked_kernelIfdLj512ELj4EEvPT_PT0_,"axG",@progbits,_Z25striped_to_blocked_kernelIfdLj512ELj4EEvPT_PT0_,comdat
.Lfunc_end36:
	.size	_Z25striped_to_blocked_kernelIfdLj512ELj4EEvPT_PT0_, .Lfunc_end36-_Z25striped_to_blocked_kernelIfdLj512ELj4EEvPT_PT0_
                                        ; -- End function
	.section	.AMDGPU.csdata,"",@progbits
; Kernel info:
; codeLenInByte = 272
; NumSgprs: 16
; NumVgprs: 11
; ScratchSize: 0
; MemoryBound: 0
; FloatMode: 240
; IeeeMode: 1
; LDSByteSize: 2112 bytes/workgroup (compile time only)
; SGPRBlocks: 1
; VGPRBlocks: 1
; NumSGPRsForWavesPerEU: 16
; NumVGPRsForWavesPerEU: 11
; Occupancy: 16
; WaveLimiterHint : 0
; COMPUTE_PGM_RSRC2:SCRATCH_EN: 0
; COMPUTE_PGM_RSRC2:USER_SGPR: 15
; COMPUTE_PGM_RSRC2:TRAP_HANDLER: 0
; COMPUTE_PGM_RSRC2:TGID_X_EN: 1
; COMPUTE_PGM_RSRC2:TGID_Y_EN: 0
; COMPUTE_PGM_RSRC2:TGID_Z_EN: 0
; COMPUTE_PGM_RSRC2:TIDIG_COMP_CNT: 0
	.section	.text._Z25striped_to_blocked_kernelIiiLj512ELj4EEvPT_PT0_,"axG",@progbits,_Z25striped_to_blocked_kernelIiiLj512ELj4EEvPT_PT0_,comdat
	.protected	_Z25striped_to_blocked_kernelIiiLj512ELj4EEvPT_PT0_ ; -- Begin function _Z25striped_to_blocked_kernelIiiLj512ELj4EEvPT_PT0_
	.globl	_Z25striped_to_blocked_kernelIiiLj512ELj4EEvPT_PT0_
	.p2align	8
	.type	_Z25striped_to_blocked_kernelIiiLj512ELj4EEvPT_PT0_,@function
_Z25striped_to_blocked_kernelIiiLj512ELj4EEvPT_PT0_: ; @_Z25striped_to_blocked_kernelIiiLj512ELj4EEvPT_PT0_
; %bb.0:
	s_load_b128 s[0:3], s[0:1], 0x0
	s_mov_b32 s5, 0
	s_lshl_b32 s4, s15, 9
	v_lshlrev_b32_e32 v5, 4, v0
	s_lshl_b64 s[4:5], s[4:5], 2
	v_add_nc_u32_e32 v6, 0x80, v0
	v_add_nc_u32_e32 v7, 0x100, v0
	;; [unrolled: 1-line block ×3, first 2 shown]
	v_lshlrev_b32_e32 v9, 2, v0
	v_lshrrev_b32_e32 v10, 5, v0
	v_lshrrev_b32_e32 v6, 5, v6
	;; [unrolled: 1-line block ×5, first 2 shown]
	v_add_lshl_u32 v10, v10, v0, 2
	v_add_lshl_u32 v6, v6, v0, 2
	;; [unrolled: 1-line block ×5, first 2 shown]
	s_waitcnt lgkmcnt(0)
	s_add_u32 s0, s0, s4
	s_addc_u32 s1, s1, s5
	global_load_b128 v[1:4], v5, s[0:1]
	s_add_u32 s0, s2, s4
	s_addc_u32 s1, s3, s5
	s_waitcnt vmcnt(0)
	ds_store_b32 v10, v1
	ds_store_b32 v6, v2 offset:512
	ds_store_b32 v7, v3 offset:1024
	;; [unrolled: 1-line block ×3, first 2 shown]
	s_waitcnt lgkmcnt(0)
	s_barrier
	buffer_gl0_inv
	ds_load_2addr_b32 v[0:1], v8 offset1:1
	ds_load_2addr_b32 v[2:3], v8 offset0:2 offset1:3
	s_waitcnt lgkmcnt(0)
	global_store_b128 v5, v[0:3], s[0:1]
	s_nop 0
	s_sendmsg sendmsg(MSG_DEALLOC_VGPRS)
	s_endpgm
	.section	.rodata,"a",@progbits
	.p2align	6, 0x0
	.amdhsa_kernel _Z25striped_to_blocked_kernelIiiLj512ELj4EEvPT_PT0_
		.amdhsa_group_segment_fixed_size 2112
		.amdhsa_private_segment_fixed_size 0
		.amdhsa_kernarg_size 16
		.amdhsa_user_sgpr_count 15
		.amdhsa_user_sgpr_dispatch_ptr 0
		.amdhsa_user_sgpr_queue_ptr 0
		.amdhsa_user_sgpr_kernarg_segment_ptr 1
		.amdhsa_user_sgpr_dispatch_id 0
		.amdhsa_user_sgpr_private_segment_size 0
		.amdhsa_wavefront_size32 1
		.amdhsa_uses_dynamic_stack 0
		.amdhsa_enable_private_segment 0
		.amdhsa_system_sgpr_workgroup_id_x 1
		.amdhsa_system_sgpr_workgroup_id_y 0
		.amdhsa_system_sgpr_workgroup_id_z 0
		.amdhsa_system_sgpr_workgroup_info 0
		.amdhsa_system_vgpr_workitem_id 0
		.amdhsa_next_free_vgpr 12
		.amdhsa_next_free_sgpr 16
		.amdhsa_reserve_vcc 0
		.amdhsa_float_round_mode_32 0
		.amdhsa_float_round_mode_16_64 0
		.amdhsa_float_denorm_mode_32 3
		.amdhsa_float_denorm_mode_16_64 3
		.amdhsa_dx10_clamp 1
		.amdhsa_ieee_mode 1
		.amdhsa_fp16_overflow 0
		.amdhsa_workgroup_processor_mode 1
		.amdhsa_memory_ordered 1
		.amdhsa_forward_progress 0
		.amdhsa_shared_vgpr_count 0
		.amdhsa_exception_fp_ieee_invalid_op 0
		.amdhsa_exception_fp_denorm_src 0
		.amdhsa_exception_fp_ieee_div_zero 0
		.amdhsa_exception_fp_ieee_overflow 0
		.amdhsa_exception_fp_ieee_underflow 0
		.amdhsa_exception_fp_ieee_inexact 0
		.amdhsa_exception_int_div_zero 0
	.end_amdhsa_kernel
	.section	.text._Z25striped_to_blocked_kernelIiiLj512ELj4EEvPT_PT0_,"axG",@progbits,_Z25striped_to_blocked_kernelIiiLj512ELj4EEvPT_PT0_,comdat
.Lfunc_end37:
	.size	_Z25striped_to_blocked_kernelIiiLj512ELj4EEvPT_PT0_, .Lfunc_end37-_Z25striped_to_blocked_kernelIiiLj512ELj4EEvPT_PT0_
                                        ; -- End function
	.section	.AMDGPU.csdata,"",@progbits
; Kernel info:
; codeLenInByte = 232
; NumSgprs: 16
; NumVgprs: 12
; ScratchSize: 0
; MemoryBound: 0
; FloatMode: 240
; IeeeMode: 1
; LDSByteSize: 2112 bytes/workgroup (compile time only)
; SGPRBlocks: 1
; VGPRBlocks: 1
; NumSGPRsForWavesPerEU: 16
; NumVGPRsForWavesPerEU: 12
; Occupancy: 16
; WaveLimiterHint : 0
; COMPUTE_PGM_RSRC2:SCRATCH_EN: 0
; COMPUTE_PGM_RSRC2:USER_SGPR: 15
; COMPUTE_PGM_RSRC2:TRAP_HANDLER: 0
; COMPUTE_PGM_RSRC2:TGID_X_EN: 1
; COMPUTE_PGM_RSRC2:TGID_Y_EN: 0
; COMPUTE_PGM_RSRC2:TGID_Z_EN: 0
; COMPUTE_PGM_RSRC2:TIDIG_COMP_CNT: 0
	.section	.text._Z30blocked_to_warp_striped_kernelIsiLj2106ELj9EEvPT_PT0_,"axG",@progbits,_Z30blocked_to_warp_striped_kernelIsiLj2106ELj9EEvPT_PT0_,comdat
	.protected	_Z30blocked_to_warp_striped_kernelIsiLj2106ELj9EEvPT_PT0_ ; -- Begin function _Z30blocked_to_warp_striped_kernelIsiLj2106ELj9EEvPT_PT0_
	.globl	_Z30blocked_to_warp_striped_kernelIsiLj2106ELj9EEvPT_PT0_
	.p2align	8
	.type	_Z30blocked_to_warp_striped_kernelIsiLj2106ELj9EEvPT_PT0_,@function
_Z30blocked_to_warp_striped_kernelIsiLj2106ELj9EEvPT_PT0_: ; @_Z30blocked_to_warp_striped_kernelIsiLj2106ELj9EEvPT_PT0_
; %bb.0:
	s_load_b128 s[0:3], s[0:1], 0x0
	v_mul_u32_u24_e32 v8, 9, v0
	s_mov_b32 s5, 0
	s_mul_i32 s4, s15, 0x83a
	v_lshrrev_b32_e32 v6, 5, v0
	s_lshl_b64 s[6:7], s[4:5], 1
	v_lshlrev_b32_e32 v5, 1, v8
	v_mbcnt_lo_u32_b32 v7, -1, 0
	v_and_b32_e32 v0, 0x1e0, v0
	v_mul_u32_u24_e32 v6, 0x120, v6
	v_lshlrev_b32_e32 v8, 2, v8
	s_delay_alu instid0(VALU_DEP_3) | instskip(NEXT) | instid1(VALU_DEP_3)
	v_cmp_eq_u32_e32 vcc_lo, 0xe0, v0
	v_or_b32_e32 v9, v7, v6
	v_mul_u32_u24_e32 v7, 9, v7
	v_cndmask_b32_e64 v0, 64, 20, vcc_lo
	s_delay_alu instid0(VALU_DEP_3)
	v_lshlrev_b32_e32 v9, 1, v9
	s_waitcnt lgkmcnt(0)
	s_add_u32 s0, s0, s6
	s_addc_u32 s1, s1, s7
	v_add_lshl_u32 v6, v7, v6, 1
	s_clause 0x1
	global_load_b128 v[1:4], v5, s[0:1]
	global_load_u16 v5, v5, s[0:1] offset:16
	v_add_nc_u32_e32 v10, v9, v0
	s_lshl_b64 s[0:1], s[4:5], 2
	s_waitcnt vmcnt(1)
	ds_store_b128 v6, v[1:4]
	s_waitcnt vmcnt(0)
	ds_store_b16 v6, v5 offset:16
	v_add_nc_u32_e32 v11, v10, v0
	; wave barrier
	s_add_u32 s0, s2, s0
	s_addc_u32 s1, s3, s1
	s_delay_alu instid0(VALU_DEP_1) | instskip(NEXT) | instid1(VALU_DEP_1)
	v_add_nc_u32_e32 v12, v11, v0
	v_add_nc_u32_e32 v13, v12, v0
	s_delay_alu instid0(VALU_DEP_1) | instskip(NEXT) | instid1(VALU_DEP_1)
	v_add_nc_u32_e32 v14, v13, v0
	v_add_nc_u32_e32 v15, v14, v0
	s_delay_alu instid0(VALU_DEP_1) | instskip(NEXT) | instid1(VALU_DEP_1)
	v_add_nc_u32_e32 v16, v15, v0
	v_add_nc_u32_e32 v17, v16, v0
	ds_load_i16 v0, v9
	ds_load_i16 v1, v10
	;; [unrolled: 1-line block ×9, first 2 shown]
	s_waitcnt lgkmcnt(5)
	global_store_b128 v8, v[0:3], s[0:1]
	s_waitcnt lgkmcnt(1)
	global_store_b128 v8, v[4:7], s[0:1] offset:16
	s_waitcnt lgkmcnt(0)
	global_store_b32 v8, v9, s[0:1] offset:32
	s_nop 0
	s_sendmsg sendmsg(MSG_DEALLOC_VGPRS)
	s_endpgm
	.section	.rodata,"a",@progbits
	.p2align	6, 0x0
	.amdhsa_kernel _Z30blocked_to_warp_striped_kernelIsiLj2106ELj9EEvPT_PT0_
		.amdhsa_group_segment_fixed_size 4224
		.amdhsa_private_segment_fixed_size 0
		.amdhsa_kernarg_size 16
		.amdhsa_user_sgpr_count 15
		.amdhsa_user_sgpr_dispatch_ptr 0
		.amdhsa_user_sgpr_queue_ptr 0
		.amdhsa_user_sgpr_kernarg_segment_ptr 1
		.amdhsa_user_sgpr_dispatch_id 0
		.amdhsa_user_sgpr_private_segment_size 0
		.amdhsa_wavefront_size32 1
		.amdhsa_uses_dynamic_stack 0
		.amdhsa_enable_private_segment 0
		.amdhsa_system_sgpr_workgroup_id_x 1
		.amdhsa_system_sgpr_workgroup_id_y 0
		.amdhsa_system_sgpr_workgroup_id_z 0
		.amdhsa_system_sgpr_workgroup_info 0
		.amdhsa_system_vgpr_workitem_id 0
		.amdhsa_next_free_vgpr 18
		.amdhsa_next_free_sgpr 16
		.amdhsa_reserve_vcc 1
		.amdhsa_float_round_mode_32 0
		.amdhsa_float_round_mode_16_64 0
		.amdhsa_float_denorm_mode_32 3
		.amdhsa_float_denorm_mode_16_64 3
		.amdhsa_dx10_clamp 1
		.amdhsa_ieee_mode 1
		.amdhsa_fp16_overflow 0
		.amdhsa_workgroup_processor_mode 1
		.amdhsa_memory_ordered 1
		.amdhsa_forward_progress 0
		.amdhsa_shared_vgpr_count 0
		.amdhsa_exception_fp_ieee_invalid_op 0
		.amdhsa_exception_fp_denorm_src 0
		.amdhsa_exception_fp_ieee_div_zero 0
		.amdhsa_exception_fp_ieee_overflow 0
		.amdhsa_exception_fp_ieee_underflow 0
		.amdhsa_exception_fp_ieee_inexact 0
		.amdhsa_exception_int_div_zero 0
	.end_amdhsa_kernel
	.section	.text._Z30blocked_to_warp_striped_kernelIsiLj2106ELj9EEvPT_PT0_,"axG",@progbits,_Z30blocked_to_warp_striped_kernelIsiLj2106ELj9EEvPT_PT0_,comdat
.Lfunc_end38:
	.size	_Z30blocked_to_warp_striped_kernelIsiLj2106ELj9EEvPT_PT0_, .Lfunc_end38-_Z30blocked_to_warp_striped_kernelIsiLj2106ELj9EEvPT_PT0_
                                        ; -- End function
	.section	.AMDGPU.csdata,"",@progbits
; Kernel info:
; codeLenInByte = 340
; NumSgprs: 18
; NumVgprs: 18
; ScratchSize: 0
; MemoryBound: 0
; FloatMode: 240
; IeeeMode: 1
; LDSByteSize: 4224 bytes/workgroup (compile time only)
; SGPRBlocks: 2
; VGPRBlocks: 2
; NumSGPRsForWavesPerEU: 18
; NumVGPRsForWavesPerEU: 18
; Occupancy: 16
; WaveLimiterHint : 0
; COMPUTE_PGM_RSRC2:SCRATCH_EN: 0
; COMPUTE_PGM_RSRC2:USER_SGPR: 15
; COMPUTE_PGM_RSRC2:TRAP_HANDLER: 0
; COMPUTE_PGM_RSRC2:TGID_X_EN: 1
; COMPUTE_PGM_RSRC2:TGID_Y_EN: 0
; COMPUTE_PGM_RSRC2:TGID_Z_EN: 0
; COMPUTE_PGM_RSRC2:TIDIG_COMP_CNT: 0
	.section	.text._Z30blocked_to_warp_striped_kernelItjLj300ELj3EEvPT_PT0_,"axG",@progbits,_Z30blocked_to_warp_striped_kernelItjLj300ELj3EEvPT_PT0_,comdat
	.protected	_Z30blocked_to_warp_striped_kernelItjLj300ELj3EEvPT_PT0_ ; -- Begin function _Z30blocked_to_warp_striped_kernelItjLj300ELj3EEvPT_PT0_
	.globl	_Z30blocked_to_warp_striped_kernelItjLj300ELj3EEvPT_PT0_
	.p2align	8
	.type	_Z30blocked_to_warp_striped_kernelItjLj300ELj3EEvPT_PT0_,@function
_Z30blocked_to_warp_striped_kernelItjLj300ELj3EEvPT_PT0_: ; @_Z30blocked_to_warp_striped_kernelItjLj300ELj3EEvPT_PT0_
; %bb.0:
	s_load_b128 s[0:3], s[0:1], 0x0
	v_mul_u32_u24_e32 v3, 3, v0
	s_mov_b32 s5, 0
	s_mul_i32 s4, s15, 0x12c
	v_lshrrev_b32_e32 v4, 5, v0
	s_lshl_b64 s[6:7], s[4:5], 1
	v_lshlrev_b32_e32 v1, 1, v3
	v_and_b32_e32 v0, 0x1e0, v0
	v_mbcnt_lo_u32_b32 v5, -1, 0
	v_mul_u32_u24_e32 v4, 0x60, v4
	v_lshlrev_b32_e32 v3, 2, v3
	s_delay_alu instid0(VALU_DEP_4) | instskip(NEXT) | instid1(VALU_DEP_3)
	v_cmp_eq_u32_e32 vcc_lo, 0x60, v0
	v_or_b32_e32 v6, v5, v4
	v_mul_u32_u24_e32 v5, 3, v5
	v_cndmask_b32_e64 v0, 5, 2, vcc_lo
	s_delay_alu instid0(VALU_DEP_3)
	v_lshlrev_b32_e32 v6, 1, v6
	s_waitcnt lgkmcnt(0)
	s_add_u32 s0, s0, s6
	s_addc_u32 s1, s1, s7
	v_lshlrev_b32_e64 v7, v0, 1
	s_clause 0x1
	global_load_b32 v2, v1, s[0:1]
	global_load_u16 v1, v1, s[0:1] offset:4
	v_lshlrev_b32_e64 v0, v0, 2
	v_add_lshl_u32 v4, v5, v4, 1
	s_lshl_b64 s[0:1], s[4:5], 2
	v_lshl_add_u32 v5, v7, 1, v6
	s_add_u32 s0, s2, s0
	v_lshl_add_u32 v7, v0, 1, v6
	s_addc_u32 s1, s3, s1
	s_waitcnt vmcnt(1)
	ds_store_b16 v4, v2
	ds_store_b16_d16_hi v4, v2 offset:2
	s_waitcnt vmcnt(0)
	ds_store_b16 v4, v1 offset:4
	; wave barrier
	ds_load_u16 v0, v6
	ds_load_u16 v1, v5
	;; [unrolled: 1-line block ×3, first 2 shown]
	s_waitcnt lgkmcnt(0)
	global_store_b96 v3, v[0:2], s[0:1]
	s_nop 0
	s_sendmsg sendmsg(MSG_DEALLOC_VGPRS)
	s_endpgm
	.section	.rodata,"a",@progbits
	.p2align	6, 0x0
	.amdhsa_kernel _Z30blocked_to_warp_striped_kernelItjLj300ELj3EEvPT_PT0_
		.amdhsa_group_segment_fixed_size 608
		.amdhsa_private_segment_fixed_size 0
		.amdhsa_kernarg_size 16
		.amdhsa_user_sgpr_count 15
		.amdhsa_user_sgpr_dispatch_ptr 0
		.amdhsa_user_sgpr_queue_ptr 0
		.amdhsa_user_sgpr_kernarg_segment_ptr 1
		.amdhsa_user_sgpr_dispatch_id 0
		.amdhsa_user_sgpr_private_segment_size 0
		.amdhsa_wavefront_size32 1
		.amdhsa_uses_dynamic_stack 0
		.amdhsa_enable_private_segment 0
		.amdhsa_system_sgpr_workgroup_id_x 1
		.amdhsa_system_sgpr_workgroup_id_y 0
		.amdhsa_system_sgpr_workgroup_id_z 0
		.amdhsa_system_sgpr_workgroup_info 0
		.amdhsa_system_vgpr_workitem_id 0
		.amdhsa_next_free_vgpr 8
		.amdhsa_next_free_sgpr 16
		.amdhsa_reserve_vcc 1
		.amdhsa_float_round_mode_32 0
		.amdhsa_float_round_mode_16_64 0
		.amdhsa_float_denorm_mode_32 3
		.amdhsa_float_denorm_mode_16_64 3
		.amdhsa_dx10_clamp 1
		.amdhsa_ieee_mode 1
		.amdhsa_fp16_overflow 0
		.amdhsa_workgroup_processor_mode 1
		.amdhsa_memory_ordered 1
		.amdhsa_forward_progress 0
		.amdhsa_shared_vgpr_count 0
		.amdhsa_exception_fp_ieee_invalid_op 0
		.amdhsa_exception_fp_denorm_src 0
		.amdhsa_exception_fp_ieee_div_zero 0
		.amdhsa_exception_fp_ieee_overflow 0
		.amdhsa_exception_fp_ieee_underflow 0
		.amdhsa_exception_fp_ieee_inexact 0
		.amdhsa_exception_int_div_zero 0
	.end_amdhsa_kernel
	.section	.text._Z30blocked_to_warp_striped_kernelItjLj300ELj3EEvPT_PT0_,"axG",@progbits,_Z30blocked_to_warp_striped_kernelItjLj300ELj3EEvPT_PT0_,comdat
.Lfunc_end39:
	.size	_Z30blocked_to_warp_striped_kernelItjLj300ELj3EEvPT_PT0_, .Lfunc_end39-_Z30blocked_to_warp_striped_kernelItjLj300ELj3EEvPT_PT0_
                                        ; -- End function
	.section	.AMDGPU.csdata,"",@progbits
; Kernel info:
; codeLenInByte = 264
; NumSgprs: 18
; NumVgprs: 8
; ScratchSize: 0
; MemoryBound: 0
; FloatMode: 240
; IeeeMode: 1
; LDSByteSize: 608 bytes/workgroup (compile time only)
; SGPRBlocks: 2
; VGPRBlocks: 0
; NumSGPRsForWavesPerEU: 18
; NumVGPRsForWavesPerEU: 8
; Occupancy: 16
; WaveLimiterHint : 0
; COMPUTE_PGM_RSRC2:SCRATCH_EN: 0
; COMPUTE_PGM_RSRC2:USER_SGPR: 15
; COMPUTE_PGM_RSRC2:TRAP_HANDLER: 0
; COMPUTE_PGM_RSRC2:TGID_X_EN: 1
; COMPUTE_PGM_RSRC2:TGID_Y_EN: 0
; COMPUTE_PGM_RSRC2:TGID_Z_EN: 0
; COMPUTE_PGM_RSRC2:TIDIG_COMP_CNT: 0
	.section	.text._Z30blocked_to_warp_striped_kernelIc5dummyIdELj928ELj2EEvPT_PT0_,"axG",@progbits,_Z30blocked_to_warp_striped_kernelIc5dummyIdELj928ELj2EEvPT_PT0_,comdat
	.protected	_Z30blocked_to_warp_striped_kernelIc5dummyIdELj928ELj2EEvPT_PT0_ ; -- Begin function _Z30blocked_to_warp_striped_kernelIc5dummyIdELj928ELj2EEvPT_PT0_
	.globl	_Z30blocked_to_warp_striped_kernelIc5dummyIdELj928ELj2EEvPT_PT0_
	.p2align	8
	.type	_Z30blocked_to_warp_striped_kernelIc5dummyIdELj928ELj2EEvPT_PT0_,@function
_Z30blocked_to_warp_striped_kernelIc5dummyIdELj928ELj2EEvPT_PT0_: ; @_Z30blocked_to_warp_striped_kernelIc5dummyIdELj928ELj2EEvPT_PT0_
; %bb.0:
	s_load_b128 s[0:3], s[0:1], 0x0
	s_mul_i32 s4, s15, 0x3a0
	v_lshlrev_b32_e32 v1, 1, v0
	v_and_b32_e32 v4, 0x1e0, v0
	v_mbcnt_lo_u32_b32 v3, -1, 0
	v_lshrrev_b32_e32 v6, 4, v0
	s_mov_b32 s5, 0
	v_lshlrev_b32_e32 v0, 5, v0
	v_cmp_eq_u32_e32 vcc_lo, 0x1c0, v4
	s_delay_alu instid0(VALU_DEP_3)
	v_and_b32_e32 v6, 28, v6
	v_cndmask_b32_e64 v5, 32, 16, vcc_lo
	s_waitcnt lgkmcnt(0)
	s_add_u32 s0, s0, s4
	s_addc_u32 s1, s1, 0
	global_load_u16 v2, v1, s[0:1]
	v_and_or_b32 v1, 0x3c0, v1, v3
	v_or_b32_e32 v3, v3, v4
	s_lshl_b64 s[0:1], s[4:5], 4
	s_delay_alu instid0(SALU_CYCLE_1) | instskip(NEXT) | instid1(VALU_DEP_2)
	s_add_u32 s0, s2, s0
	v_add_nc_u32_e32 v5, v1, v5
	s_delay_alu instid0(VALU_DEP_2) | instskip(SKIP_2) | instid1(VALU_DEP_3)
	v_lshl_add_u32 v3, v3, 1, v6
	v_add_nc_u32_e32 v1, v6, v1
	s_addc_u32 s1, s3, s1
	v_lshrrev_b32_e32 v4, 5, v5
	s_delay_alu instid0(VALU_DEP_1) | instskip(NEXT) | instid1(VALU_DEP_1)
	v_and_b32_e32 v4, 60, v4
	v_add_nc_u32_e32 v4, v4, v5
	s_waitcnt vmcnt(0)
	v_lshrrev_b16 v7, 8, v2
	ds_store_b8 v3, v2
	ds_store_b8 v3, v7 offset:1
	; wave barrier
	ds_load_i8 v1, v1
	ds_load_i8 v2, v4
	s_waitcnt lgkmcnt(1)
	v_add_nc_u32_e32 v3, 1, v1
	v_lshlrev_b32_e32 v4, 1, v1
	s_waitcnt lgkmcnt(0)
	v_add_nc_u32_e32 v5, 1, v2
	v_lshlrev_b32_e32 v7, 1, v2
	v_cvt_f64_i32_e32 v[1:2], v3
	v_cvt_f64_i32_e32 v[3:4], v4
	s_delay_alu instid0(VALU_DEP_4) | instskip(NEXT) | instid1(VALU_DEP_4)
	v_cvt_f64_i32_e32 v[5:6], v5
	v_cvt_f64_i32_e32 v[7:8], v7
	s_clause 0x1
	global_store_b128 v0, v[1:4], s[0:1]
	global_store_b128 v0, v[5:8], s[0:1] offset:16
	s_nop 0
	s_sendmsg sendmsg(MSG_DEALLOC_VGPRS)
	s_endpgm
	.section	.rodata,"a",@progbits
	.p2align	6, 0x0
	.amdhsa_kernel _Z30blocked_to_warp_striped_kernelIc5dummyIdELj928ELj2EEvPT_PT0_
		.amdhsa_group_segment_fixed_size 960
		.amdhsa_private_segment_fixed_size 0
		.amdhsa_kernarg_size 16
		.amdhsa_user_sgpr_count 15
		.amdhsa_user_sgpr_dispatch_ptr 0
		.amdhsa_user_sgpr_queue_ptr 0
		.amdhsa_user_sgpr_kernarg_segment_ptr 1
		.amdhsa_user_sgpr_dispatch_id 0
		.amdhsa_user_sgpr_private_segment_size 0
		.amdhsa_wavefront_size32 1
		.amdhsa_uses_dynamic_stack 0
		.amdhsa_enable_private_segment 0
		.amdhsa_system_sgpr_workgroup_id_x 1
		.amdhsa_system_sgpr_workgroup_id_y 0
		.amdhsa_system_sgpr_workgroup_id_z 0
		.amdhsa_system_sgpr_workgroup_info 0
		.amdhsa_system_vgpr_workitem_id 0
		.amdhsa_next_free_vgpr 9
		.amdhsa_next_free_sgpr 16
		.amdhsa_reserve_vcc 1
		.amdhsa_float_round_mode_32 0
		.amdhsa_float_round_mode_16_64 0
		.amdhsa_float_denorm_mode_32 3
		.amdhsa_float_denorm_mode_16_64 3
		.amdhsa_dx10_clamp 1
		.amdhsa_ieee_mode 1
		.amdhsa_fp16_overflow 0
		.amdhsa_workgroup_processor_mode 1
		.amdhsa_memory_ordered 1
		.amdhsa_forward_progress 0
		.amdhsa_shared_vgpr_count 0
		.amdhsa_exception_fp_ieee_invalid_op 0
		.amdhsa_exception_fp_denorm_src 0
		.amdhsa_exception_fp_ieee_div_zero 0
		.amdhsa_exception_fp_ieee_overflow 0
		.amdhsa_exception_fp_ieee_underflow 0
		.amdhsa_exception_fp_ieee_inexact 0
		.amdhsa_exception_int_div_zero 0
	.end_amdhsa_kernel
	.section	.text._Z30blocked_to_warp_striped_kernelIc5dummyIdELj928ELj2EEvPT_PT0_,"axG",@progbits,_Z30blocked_to_warp_striped_kernelIc5dummyIdELj928ELj2EEvPT_PT0_,comdat
.Lfunc_end40:
	.size	_Z30blocked_to_warp_striped_kernelIc5dummyIdELj928ELj2EEvPT_PT0_, .Lfunc_end40-_Z30blocked_to_warp_striped_kernelIc5dummyIdELj928ELj2EEvPT_PT0_
                                        ; -- End function
	.section	.AMDGPU.csdata,"",@progbits
; Kernel info:
; codeLenInByte = 280
; NumSgprs: 18
; NumVgprs: 9
; ScratchSize: 0
; MemoryBound: 0
; FloatMode: 240
; IeeeMode: 1
; LDSByteSize: 960 bytes/workgroup (compile time only)
; SGPRBlocks: 2
; VGPRBlocks: 1
; NumSGPRsForWavesPerEU: 18
; NumVGPRsForWavesPerEU: 9
; Occupancy: 16
; WaveLimiterHint : 0
; COMPUTE_PGM_RSRC2:SCRATCH_EN: 0
; COMPUTE_PGM_RSRC2:USER_SGPR: 15
; COMPUTE_PGM_RSRC2:TRAP_HANDLER: 0
; COMPUTE_PGM_RSRC2:TGID_X_EN: 1
; COMPUTE_PGM_RSRC2:TGID_Y_EN: 0
; COMPUTE_PGM_RSRC2:TGID_Z_EN: 0
; COMPUTE_PGM_RSRC2:TIDIG_COMP_CNT: 0
	.section	.text._Z30blocked_to_warp_striped_kernelIfiLj165ELj5EEvPT_PT0_,"axG",@progbits,_Z30blocked_to_warp_striped_kernelIfiLj165ELj5EEvPT_PT0_,comdat
	.protected	_Z30blocked_to_warp_striped_kernelIfiLj165ELj5EEvPT_PT0_ ; -- Begin function _Z30blocked_to_warp_striped_kernelIfiLj165ELj5EEvPT_PT0_
	.globl	_Z30blocked_to_warp_striped_kernelIfiLj165ELj5EEvPT_PT0_
	.p2align	8
	.type	_Z30blocked_to_warp_striped_kernelIfiLj165ELj5EEvPT_PT0_,@function
_Z30blocked_to_warp_striped_kernelIfiLj165ELj5EEvPT_PT0_: ; @_Z30blocked_to_warp_striped_kernelIfiLj165ELj5EEvPT_PT0_
; %bb.0:
	s_load_b128 s[0:3], s[0:1], 0x0
	v_mul_u32_u24_e32 v1, 5, v0
	s_mov_b32 s5, 0
	s_mul_i32 s4, s15, 0xa5
	v_lshrrev_b32_e32 v7, 5, v0
	s_lshl_b64 s[4:5], s[4:5], 2
	v_lshlrev_b32_e32 v5, 2, v1
	v_and_b32_e32 v0, 0x1e0, v0
	v_mbcnt_lo_u32_b32 v8, -1, 0
	v_mul_u32_u24_e32 v7, 0xa0, v7
	s_delay_alu instid0(VALU_DEP_3) | instskip(NEXT) | instid1(VALU_DEP_2)
	v_cmp_eq_u32_e32 vcc_lo, 32, v0
	v_or_b32_e32 v9, v8, v7
	v_mul_u32_u24_e32 v8, 5, v8
	v_cndmask_b32_e64 v0, 5, 0, vcc_lo
	s_delay_alu instid0(VALU_DEP_3)
	v_lshlrev_b32_e32 v9, 2, v9
	s_waitcnt lgkmcnt(0)
	s_add_u32 s0, s0, s4
	s_addc_u32 s1, s1, s5
	v_lshlrev_b32_e64 v10, v0, 1
	s_clause 0x1
	global_load_b128 v[1:4], v5, s[0:1]
	global_load_b32 v6, v5, s[0:1] offset:16
	v_lshlrev_b32_e64 v11, v0, 2
	v_lshlrev_b32_e64 v12, v0, 3
	v_lshlrev_b32_e64 v0, v0, 4
	v_add_lshl_u32 v7, v8, v7, 2
	v_lshl_add_u32 v8, v10, 2, v9
	v_lshl_add_u32 v10, v11, 2, v9
	;; [unrolled: 1-line block ×4, first 2 shown]
	s_add_u32 s0, s2, s4
	s_addc_u32 s1, s3, s5
	s_waitcnt vmcnt(1)
	ds_store_2addr_b32 v7, v1, v2 offset1:1
	ds_store_2addr_b32 v7, v3, v4 offset0:2 offset1:3
	s_waitcnt vmcnt(0)
	ds_store_b32 v7, v6 offset:16
	; wave barrier
	ds_load_b32 v1, v9
	ds_load_b32 v2, v8
	;; [unrolled: 1-line block ×5, first 2 shown]
	s_waitcnt lgkmcnt(4)
	v_cvt_i32_f32_e32 v0, v1
	s_waitcnt lgkmcnt(3)
	v_cvt_i32_f32_e32 v1, v2
	s_waitcnt lgkmcnt(2)
	v_cvt_i32_f32_e32 v2, v3
	s_waitcnt lgkmcnt(1)
	v_cvt_i32_f32_e32 v3, v4
	s_waitcnt lgkmcnt(0)
	v_cvt_i32_f32_e32 v4, v6
	s_clause 0x1
	global_store_b128 v5, v[0:3], s[0:1]
	global_store_b32 v5, v4, s[0:1] offset:16
	s_nop 0
	s_sendmsg sendmsg(MSG_DEALLOC_VGPRS)
	s_endpgm
	.section	.rodata,"a",@progbits
	.p2align	6, 0x0
	.amdhsa_kernel _Z30blocked_to_warp_striped_kernelIfiLj165ELj5EEvPT_PT0_
		.amdhsa_group_segment_fixed_size 672
		.amdhsa_private_segment_fixed_size 0
		.amdhsa_kernarg_size 16
		.amdhsa_user_sgpr_count 15
		.amdhsa_user_sgpr_dispatch_ptr 0
		.amdhsa_user_sgpr_queue_ptr 0
		.amdhsa_user_sgpr_kernarg_segment_ptr 1
		.amdhsa_user_sgpr_dispatch_id 0
		.amdhsa_user_sgpr_private_segment_size 0
		.amdhsa_wavefront_size32 1
		.amdhsa_uses_dynamic_stack 0
		.amdhsa_enable_private_segment 0
		.amdhsa_system_sgpr_workgroup_id_x 1
		.amdhsa_system_sgpr_workgroup_id_y 0
		.amdhsa_system_sgpr_workgroup_id_z 0
		.amdhsa_system_sgpr_workgroup_info 0
		.amdhsa_system_vgpr_workitem_id 0
		.amdhsa_next_free_vgpr 13
		.amdhsa_next_free_sgpr 16
		.amdhsa_reserve_vcc 1
		.amdhsa_float_round_mode_32 0
		.amdhsa_float_round_mode_16_64 0
		.amdhsa_float_denorm_mode_32 3
		.amdhsa_float_denorm_mode_16_64 3
		.amdhsa_dx10_clamp 1
		.amdhsa_ieee_mode 1
		.amdhsa_fp16_overflow 0
		.amdhsa_workgroup_processor_mode 1
		.amdhsa_memory_ordered 1
		.amdhsa_forward_progress 0
		.amdhsa_shared_vgpr_count 0
		.amdhsa_exception_fp_ieee_invalid_op 0
		.amdhsa_exception_fp_denorm_src 0
		.amdhsa_exception_fp_ieee_div_zero 0
		.amdhsa_exception_fp_ieee_overflow 0
		.amdhsa_exception_fp_ieee_underflow 0
		.amdhsa_exception_fp_ieee_inexact 0
		.amdhsa_exception_int_div_zero 0
	.end_amdhsa_kernel
	.section	.text._Z30blocked_to_warp_striped_kernelIfiLj165ELj5EEvPT_PT0_,"axG",@progbits,_Z30blocked_to_warp_striped_kernelIfiLj165ELj5EEvPT_PT0_,comdat
.Lfunc_end41:
	.size	_Z30blocked_to_warp_striped_kernelIfiLj165ELj5EEvPT_PT0_, .Lfunc_end41-_Z30blocked_to_warp_striped_kernelIfiLj165ELj5EEvPT_PT0_
                                        ; -- End function
	.section	.AMDGPU.csdata,"",@progbits
; Kernel info:
; codeLenInByte = 348
; NumSgprs: 18
; NumVgprs: 13
; ScratchSize: 0
; MemoryBound: 0
; FloatMode: 240
; IeeeMode: 1
; LDSByteSize: 672 bytes/workgroup (compile time only)
; SGPRBlocks: 2
; VGPRBlocks: 1
; NumSGPRsForWavesPerEU: 18
; NumVGPRsForWavesPerEU: 13
; Occupancy: 16
; WaveLimiterHint : 0
; COMPUTE_PGM_RSRC2:SCRATCH_EN: 0
; COMPUTE_PGM_RSRC2:USER_SGPR: 15
; COMPUTE_PGM_RSRC2:TRAP_HANDLER: 0
; COMPUTE_PGM_RSRC2:TGID_X_EN: 1
; COMPUTE_PGM_RSRC2:TGID_Y_EN: 0
; COMPUTE_PGM_RSRC2:TGID_Z_EN: 0
; COMPUTE_PGM_RSRC2:TIDIG_COMP_CNT: 0
	.section	.text._Z30blocked_to_warp_striped_kernelIidLj165ELj5EEvPT_PT0_,"axG",@progbits,_Z30blocked_to_warp_striped_kernelIidLj165ELj5EEvPT_PT0_,comdat
	.protected	_Z30blocked_to_warp_striped_kernelIidLj165ELj5EEvPT_PT0_ ; -- Begin function _Z30blocked_to_warp_striped_kernelIidLj165ELj5EEvPT_PT0_
	.globl	_Z30blocked_to_warp_striped_kernelIidLj165ELj5EEvPT_PT0_
	.p2align	8
	.type	_Z30blocked_to_warp_striped_kernelIidLj165ELj5EEvPT_PT0_,@function
_Z30blocked_to_warp_striped_kernelIidLj165ELj5EEvPT_PT0_: ; @_Z30blocked_to_warp_striped_kernelIidLj165ELj5EEvPT_PT0_
; %bb.0:
	s_load_b128 s[0:3], s[0:1], 0x0
	v_mul_u32_u24_e32 v10, 5, v0
	s_mov_b32 s5, 0
	s_mul_i32 s4, s15, 0xa5
	v_lshrrev_b32_e32 v6, 5, v0
	s_lshl_b64 s[6:7], s[4:5], 2
	v_lshlrev_b32_e32 v5, 2, v10
	v_and_b32_e32 v0, 0x1e0, v0
	v_mbcnt_lo_u32_b32 v7, -1, 0
	v_mul_u32_u24_e32 v6, 0xa0, v6
	v_lshlrev_b32_e32 v10, 3, v10
	s_delay_alu instid0(VALU_DEP_4) | instskip(NEXT) | instid1(VALU_DEP_3)
	v_cmp_eq_u32_e32 vcc_lo, 32, v0
	v_or_b32_e32 v8, v7, v6
	v_mul_u32_u24_e32 v7, 5, v7
	v_cndmask_b32_e64 v0, 5, 0, vcc_lo
	s_delay_alu instid0(VALU_DEP_3)
	v_lshlrev_b32_e32 v8, 2, v8
	s_waitcnt lgkmcnt(0)
	s_add_u32 s0, s0, s6
	s_addc_u32 s1, s1, s7
	v_lshlrev_b32_e64 v9, v0, 1
	s_clause 0x1
	global_load_b128 v[1:4], v5, s[0:1]
	global_load_b32 v5, v5, s[0:1] offset:16
	v_lshlrev_b32_e64 v11, v0, 2
	v_lshlrev_b32_e64 v12, v0, 3
	;; [unrolled: 1-line block ×3, first 2 shown]
	v_add_lshl_u32 v6, v7, v6, 2
	v_lshl_add_u32 v7, v9, 2, v8
	v_lshl_add_u32 v9, v11, 2, v8
	;; [unrolled: 1-line block ×4, first 2 shown]
	s_lshl_b64 s[0:1], s[4:5], 3
	s_waitcnt vmcnt(1)
	ds_store_2addr_b32 v6, v1, v2 offset1:1
	ds_store_2addr_b32 v6, v3, v4 offset0:2 offset1:3
	s_waitcnt vmcnt(0)
	ds_store_b32 v6, v5 offset:16
	; wave barrier
	ds_load_b32 v1, v8
	ds_load_b32 v2, v7
	;; [unrolled: 1-line block ×5, first 2 shown]
	s_add_u32 s0, s2, s0
	s_addc_u32 s1, s3, s1
	s_waitcnt lgkmcnt(4)
	v_cvt_f64_i32_e32 v[0:1], v1
	s_waitcnt lgkmcnt(3)
	v_cvt_f64_i32_e32 v[2:3], v2
	;; [unrolled: 2-line block ×5, first 2 shown]
	s_clause 0x2
	global_store_b128 v10, v[0:3], s[0:1]
	global_store_b128 v10, v[4:7], s[0:1] offset:16
	global_store_b64 v10, v[8:9], s[0:1] offset:32
	s_nop 0
	s_sendmsg sendmsg(MSG_DEALLOC_VGPRS)
	s_endpgm
	.section	.rodata,"a",@progbits
	.p2align	6, 0x0
	.amdhsa_kernel _Z30blocked_to_warp_striped_kernelIidLj165ELj5EEvPT_PT0_
		.amdhsa_group_segment_fixed_size 672
		.amdhsa_private_segment_fixed_size 0
		.amdhsa_kernarg_size 16
		.amdhsa_user_sgpr_count 15
		.amdhsa_user_sgpr_dispatch_ptr 0
		.amdhsa_user_sgpr_queue_ptr 0
		.amdhsa_user_sgpr_kernarg_segment_ptr 1
		.amdhsa_user_sgpr_dispatch_id 0
		.amdhsa_user_sgpr_private_segment_size 0
		.amdhsa_wavefront_size32 1
		.amdhsa_uses_dynamic_stack 0
		.amdhsa_enable_private_segment 0
		.amdhsa_system_sgpr_workgroup_id_x 1
		.amdhsa_system_sgpr_workgroup_id_y 0
		.amdhsa_system_sgpr_workgroup_id_z 0
		.amdhsa_system_sgpr_workgroup_info 0
		.amdhsa_system_vgpr_workitem_id 0
		.amdhsa_next_free_vgpr 13
		.amdhsa_next_free_sgpr 16
		.amdhsa_reserve_vcc 1
		.amdhsa_float_round_mode_32 0
		.amdhsa_float_round_mode_16_64 0
		.amdhsa_float_denorm_mode_32 3
		.amdhsa_float_denorm_mode_16_64 3
		.amdhsa_dx10_clamp 1
		.amdhsa_ieee_mode 1
		.amdhsa_fp16_overflow 0
		.amdhsa_workgroup_processor_mode 1
		.amdhsa_memory_ordered 1
		.amdhsa_forward_progress 0
		.amdhsa_shared_vgpr_count 0
		.amdhsa_exception_fp_ieee_invalid_op 0
		.amdhsa_exception_fp_denorm_src 0
		.amdhsa_exception_fp_ieee_div_zero 0
		.amdhsa_exception_fp_ieee_overflow 0
		.amdhsa_exception_fp_ieee_underflow 0
		.amdhsa_exception_fp_ieee_inexact 0
		.amdhsa_exception_int_div_zero 0
	.end_amdhsa_kernel
	.section	.text._Z30blocked_to_warp_striped_kernelIidLj165ELj5EEvPT_PT0_,"axG",@progbits,_Z30blocked_to_warp_striped_kernelIidLj165ELj5EEvPT_PT0_,comdat
.Lfunc_end42:
	.size	_Z30blocked_to_warp_striped_kernelIidLj165ELj5EEvPT_PT0_, .Lfunc_end42-_Z30blocked_to_warp_striped_kernelIidLj165ELj5EEvPT_PT0_
                                        ; -- End function
	.section	.AMDGPU.csdata,"",@progbits
; Kernel info:
; codeLenInByte = 364
; NumSgprs: 18
; NumVgprs: 13
; ScratchSize: 0
; MemoryBound: 0
; FloatMode: 240
; IeeeMode: 1
; LDSByteSize: 672 bytes/workgroup (compile time only)
; SGPRBlocks: 2
; VGPRBlocks: 1
; NumSGPRsForWavesPerEU: 18
; NumVGPRsForWavesPerEU: 13
; Occupancy: 16
; WaveLimiterHint : 0
; COMPUTE_PGM_RSRC2:SCRATCH_EN: 0
; COMPUTE_PGM_RSRC2:USER_SGPR: 15
; COMPUTE_PGM_RSRC2:TRAP_HANDLER: 0
; COMPUTE_PGM_RSRC2:TGID_X_EN: 1
; COMPUTE_PGM_RSRC2:TGID_Y_EN: 0
; COMPUTE_PGM_RSRC2:TGID_Z_EN: 0
; COMPUTE_PGM_RSRC2:TIDIG_COMP_CNT: 0
	.section	.text._Z30blocked_to_warp_striped_kernelIyyLj192ELj3EEvPT_PT0_,"axG",@progbits,_Z30blocked_to_warp_striped_kernelIyyLj192ELj3EEvPT_PT0_,comdat
	.protected	_Z30blocked_to_warp_striped_kernelIyyLj192ELj3EEvPT_PT0_ ; -- Begin function _Z30blocked_to_warp_striped_kernelIyyLj192ELj3EEvPT_PT0_
	.globl	_Z30blocked_to_warp_striped_kernelIyyLj192ELj3EEvPT_PT0_
	.p2align	8
	.type	_Z30blocked_to_warp_striped_kernelIyyLj192ELj3EEvPT_PT0_,@function
_Z30blocked_to_warp_striped_kernelIyyLj192ELj3EEvPT_PT0_: ; @_Z30blocked_to_warp_striped_kernelIyyLj192ELj3EEvPT_PT0_
; %bb.0:
	s_load_b128 s[0:3], s[0:1], 0x0
	v_mul_u32_u24_e32 v1, 3, v0
	s_mov_b32 s5, 0
	s_mul_i32 s4, s15, 0xc0
	v_lshrrev_b32_e32 v0, 5, v0
	s_lshl_b64 s[4:5], s[4:5], 3
	v_lshlrev_b32_e32 v7, 3, v1
	v_mbcnt_lo_u32_b32 v8, -1, 0
	s_delay_alu instid0(VALU_DEP_3) | instskip(NEXT) | instid1(VALU_DEP_2)
	v_mul_u32_u24_e32 v0, 0x60, v0
	v_mul_u32_u24_e32 v9, 3, v8
	s_delay_alu instid0(VALU_DEP_2) | instskip(NEXT) | instid1(VALU_DEP_2)
	v_or_b32_e32 v8, v8, v0
	v_add_lshl_u32 v0, v9, v0, 3
	s_delay_alu instid0(VALU_DEP_2)
	v_lshlrev_b32_e32 v8, 3, v8
	s_waitcnt lgkmcnt(0)
	s_add_u32 s0, s0, s4
	s_addc_u32 s1, s1, s5
	s_clause 0x1
	global_load_b128 v[1:4], v7, s[0:1]
	global_load_b64 v[5:6], v7, s[0:1] offset:16
	s_add_u32 s0, s2, s4
	s_addc_u32 s1, s3, s5
	s_waitcnt vmcnt(1)
	ds_store_2addr_b64 v0, v[1:2], v[3:4] offset1:1
	s_waitcnt vmcnt(0)
	ds_store_b64 v0, v[5:6] offset:16
	; wave barrier
	ds_load_2addr_b64 v[0:3], v8 offset1:32
	ds_load_b64 v[4:5], v8 offset:512
	s_waitcnt lgkmcnt(1)
	global_store_b128 v7, v[0:3], s[0:1]
	s_waitcnt lgkmcnt(0)
	global_store_b64 v7, v[4:5], s[0:1] offset:16
	s_nop 0
	s_sendmsg sendmsg(MSG_DEALLOC_VGPRS)
	s_endpgm
	.section	.rodata,"a",@progbits
	.p2align	6, 0x0
	.amdhsa_kernel _Z30blocked_to_warp_striped_kernelIyyLj192ELj3EEvPT_PT0_
		.amdhsa_group_segment_fixed_size 1536
		.amdhsa_private_segment_fixed_size 0
		.amdhsa_kernarg_size 16
		.amdhsa_user_sgpr_count 15
		.amdhsa_user_sgpr_dispatch_ptr 0
		.amdhsa_user_sgpr_queue_ptr 0
		.amdhsa_user_sgpr_kernarg_segment_ptr 1
		.amdhsa_user_sgpr_dispatch_id 0
		.amdhsa_user_sgpr_private_segment_size 0
		.amdhsa_wavefront_size32 1
		.amdhsa_uses_dynamic_stack 0
		.amdhsa_enable_private_segment 0
		.amdhsa_system_sgpr_workgroup_id_x 1
		.amdhsa_system_sgpr_workgroup_id_y 0
		.amdhsa_system_sgpr_workgroup_id_z 0
		.amdhsa_system_sgpr_workgroup_info 0
		.amdhsa_system_vgpr_workitem_id 0
		.amdhsa_next_free_vgpr 10
		.amdhsa_next_free_sgpr 16
		.amdhsa_reserve_vcc 0
		.amdhsa_float_round_mode_32 0
		.amdhsa_float_round_mode_16_64 0
		.amdhsa_float_denorm_mode_32 3
		.amdhsa_float_denorm_mode_16_64 3
		.amdhsa_dx10_clamp 1
		.amdhsa_ieee_mode 1
		.amdhsa_fp16_overflow 0
		.amdhsa_workgroup_processor_mode 1
		.amdhsa_memory_ordered 1
		.amdhsa_forward_progress 0
		.amdhsa_shared_vgpr_count 0
		.amdhsa_exception_fp_ieee_invalid_op 0
		.amdhsa_exception_fp_denorm_src 0
		.amdhsa_exception_fp_ieee_div_zero 0
		.amdhsa_exception_fp_ieee_overflow 0
		.amdhsa_exception_fp_ieee_underflow 0
		.amdhsa_exception_fp_ieee_inexact 0
		.amdhsa_exception_int_div_zero 0
	.end_amdhsa_kernel
	.section	.text._Z30blocked_to_warp_striped_kernelIyyLj192ELj3EEvPT_PT0_,"axG",@progbits,_Z30blocked_to_warp_striped_kernelIyyLj192ELj3EEvPT_PT0_,comdat
.Lfunc_end43:
	.size	_Z30blocked_to_warp_striped_kernelIyyLj192ELj3EEvPT_PT0_, .Lfunc_end43-_Z30blocked_to_warp_striped_kernelIyyLj192ELj3EEvPT_PT0_
                                        ; -- End function
	.section	.AMDGPU.csdata,"",@progbits
; Kernel info:
; codeLenInByte = 200
; NumSgprs: 16
; NumVgprs: 10
; ScratchSize: 0
; MemoryBound: 0
; FloatMode: 240
; IeeeMode: 1
; LDSByteSize: 1536 bytes/workgroup (compile time only)
; SGPRBlocks: 1
; VGPRBlocks: 1
; NumSGPRsForWavesPerEU: 16
; NumVGPRsForWavesPerEU: 10
; Occupancy: 16
; WaveLimiterHint : 0
; COMPUTE_PGM_RSRC2:SCRATCH_EN: 0
; COMPUTE_PGM_RSRC2:USER_SGPR: 15
; COMPUTE_PGM_RSRC2:TRAP_HANDLER: 0
; COMPUTE_PGM_RSRC2:TGID_X_EN: 1
; COMPUTE_PGM_RSRC2:TGID_Y_EN: 0
; COMPUTE_PGM_RSRC2:TGID_Z_EN: 0
; COMPUTE_PGM_RSRC2:TIDIG_COMP_CNT: 0
	.section	.text._Z30blocked_to_warp_striped_kernelIiiLj384ELj3EEvPT_PT0_,"axG",@progbits,_Z30blocked_to_warp_striped_kernelIiiLj384ELj3EEvPT_PT0_,comdat
	.protected	_Z30blocked_to_warp_striped_kernelIiiLj384ELj3EEvPT_PT0_ ; -- Begin function _Z30blocked_to_warp_striped_kernelIiiLj384ELj3EEvPT_PT0_
	.globl	_Z30blocked_to_warp_striped_kernelIiiLj384ELj3EEvPT_PT0_
	.p2align	8
	.type	_Z30blocked_to_warp_striped_kernelIiiLj384ELj3EEvPT_PT0_,@function
_Z30blocked_to_warp_striped_kernelIiiLj384ELj3EEvPT_PT0_: ; @_Z30blocked_to_warp_striped_kernelIiiLj384ELj3EEvPT_PT0_
; %bb.0:
	s_load_b128 s[0:3], s[0:1], 0x0
	v_mul_u32_u24_e32 v1, 3, v0
	s_mov_b32 s5, 0
	s_mul_i32 s4, s15, 0x180
	v_lshrrev_b32_e32 v0, 5, v0
	s_lshl_b64 s[4:5], s[4:5], 2
	v_lshlrev_b32_e32 v4, 2, v1
	v_mbcnt_lo_u32_b32 v5, -1, 0
	s_delay_alu instid0(VALU_DEP_3) | instskip(NEXT) | instid1(VALU_DEP_2)
	v_mul_u32_u24_e32 v0, 0x60, v0
	v_mul_u32_u24_e32 v6, 3, v5
	s_delay_alu instid0(VALU_DEP_2) | instskip(NEXT) | instid1(VALU_DEP_2)
	v_or_b32_e32 v5, v5, v0
	v_add_lshl_u32 v0, v6, v0, 2
	s_delay_alu instid0(VALU_DEP_2)
	v_lshlrev_b32_e32 v5, 2, v5
	s_waitcnt lgkmcnt(0)
	s_add_u32 s0, s0, s4
	s_addc_u32 s1, s1, s5
	global_load_b96 v[1:3], v4, s[0:1]
	s_add_u32 s0, s2, s4
	s_addc_u32 s1, s3, s5
	s_waitcnt vmcnt(0)
	ds_store_2addr_b32 v0, v1, v2 offset1:1
	ds_store_b32 v0, v3 offset:8
	; wave barrier
	ds_load_2addr_b32 v[0:1], v5 offset1:32
	ds_load_b32 v2, v5 offset:256
	s_waitcnt lgkmcnt(0)
	global_store_b96 v4, v[0:2], s[0:1]
	s_nop 0
	s_sendmsg sendmsg(MSG_DEALLOC_VGPRS)
	s_endpgm
	.section	.rodata,"a",@progbits
	.p2align	6, 0x0
	.amdhsa_kernel _Z30blocked_to_warp_striped_kernelIiiLj384ELj3EEvPT_PT0_
		.amdhsa_group_segment_fixed_size 1536
		.amdhsa_private_segment_fixed_size 0
		.amdhsa_kernarg_size 16
		.amdhsa_user_sgpr_count 15
		.amdhsa_user_sgpr_dispatch_ptr 0
		.amdhsa_user_sgpr_queue_ptr 0
		.amdhsa_user_sgpr_kernarg_segment_ptr 1
		.amdhsa_user_sgpr_dispatch_id 0
		.amdhsa_user_sgpr_private_segment_size 0
		.amdhsa_wavefront_size32 1
		.amdhsa_uses_dynamic_stack 0
		.amdhsa_enable_private_segment 0
		.amdhsa_system_sgpr_workgroup_id_x 1
		.amdhsa_system_sgpr_workgroup_id_y 0
		.amdhsa_system_sgpr_workgroup_id_z 0
		.amdhsa_system_sgpr_workgroup_info 0
		.amdhsa_system_vgpr_workitem_id 0
		.amdhsa_next_free_vgpr 7
		.amdhsa_next_free_sgpr 16
		.amdhsa_reserve_vcc 0
		.amdhsa_float_round_mode_32 0
		.amdhsa_float_round_mode_16_64 0
		.amdhsa_float_denorm_mode_32 3
		.amdhsa_float_denorm_mode_16_64 3
		.amdhsa_dx10_clamp 1
		.amdhsa_ieee_mode 1
		.amdhsa_fp16_overflow 0
		.amdhsa_workgroup_processor_mode 1
		.amdhsa_memory_ordered 1
		.amdhsa_forward_progress 0
		.amdhsa_shared_vgpr_count 0
		.amdhsa_exception_fp_ieee_invalid_op 0
		.amdhsa_exception_fp_denorm_src 0
		.amdhsa_exception_fp_ieee_div_zero 0
		.amdhsa_exception_fp_ieee_overflow 0
		.amdhsa_exception_fp_ieee_underflow 0
		.amdhsa_exception_fp_ieee_inexact 0
		.amdhsa_exception_int_div_zero 0
	.end_amdhsa_kernel
	.section	.text._Z30blocked_to_warp_striped_kernelIiiLj384ELj3EEvPT_PT0_,"axG",@progbits,_Z30blocked_to_warp_striped_kernelIiiLj384ELj3EEvPT_PT0_,comdat
.Lfunc_end44:
	.size	_Z30blocked_to_warp_striped_kernelIiiLj384ELj3EEvPT_PT0_, .Lfunc_end44-_Z30blocked_to_warp_striped_kernelIiiLj384ELj3EEvPT_PT0_
                                        ; -- End function
	.section	.AMDGPU.csdata,"",@progbits
; Kernel info:
; codeLenInByte = 172
; NumSgprs: 16
; NumVgprs: 7
; ScratchSize: 0
; MemoryBound: 0
; FloatMode: 240
; IeeeMode: 1
; LDSByteSize: 1536 bytes/workgroup (compile time only)
; SGPRBlocks: 1
; VGPRBlocks: 0
; NumSGPRsForWavesPerEU: 16
; NumVGPRsForWavesPerEU: 7
; Occupancy: 16
; WaveLimiterHint : 0
; COMPUTE_PGM_RSRC2:SCRATCH_EN: 0
; COMPUTE_PGM_RSRC2:USER_SGPR: 15
; COMPUTE_PGM_RSRC2:TRAP_HANDLER: 0
; COMPUTE_PGM_RSRC2:TGID_X_EN: 1
; COMPUTE_PGM_RSRC2:TGID_Y_EN: 0
; COMPUTE_PGM_RSRC2:TGID_Z_EN: 0
; COMPUTE_PGM_RSRC2:TIDIG_COMP_CNT: 0
	.section	.text._Z30blocked_to_warp_striped_kernelIs5dummyIfELj896ELj7EEvPT_PT0_,"axG",@progbits,_Z30blocked_to_warp_striped_kernelIs5dummyIfELj896ELj7EEvPT_PT0_,comdat
	.protected	_Z30blocked_to_warp_striped_kernelIs5dummyIfELj896ELj7EEvPT_PT0_ ; -- Begin function _Z30blocked_to_warp_striped_kernelIs5dummyIfELj896ELj7EEvPT_PT0_
	.globl	_Z30blocked_to_warp_striped_kernelIs5dummyIfELj896ELj7EEvPT_PT0_
	.p2align	8
	.type	_Z30blocked_to_warp_striped_kernelIs5dummyIfELj896ELj7EEvPT_PT0_,@function
_Z30blocked_to_warp_striped_kernelIs5dummyIfELj896ELj7EEvPT_PT0_: ; @_Z30blocked_to_warp_striped_kernelIs5dummyIfELj896ELj7EEvPT_PT0_
; %bb.0:
	s_load_b128 s[0:3], s[0:1], 0x0
	v_mul_u32_u24_e32 v4, 7, v0
	s_mov_b32 s5, 0
	s_mul_i32 s4, s15, 0x380
	v_lshrrev_b32_e32 v0, 5, v0
	s_lshl_b64 s[6:7], s[4:5], 1
	v_lshlrev_b32_e32 v5, 1, v4
	v_mbcnt_lo_u32_b32 v6, -1, 0
	v_lshlrev_b32_e32 v14, 3, v4
	v_mul_u32_u24_e32 v0, 0xe0, v0
	s_delay_alu instid0(VALU_DEP_3) | instskip(NEXT) | instid1(VALU_DEP_2)
	v_mul_u32_u24_e32 v7, 7, v6
	v_or_b32_e32 v6, v6, v0
	s_delay_alu instid0(VALU_DEP_2) | instskip(NEXT) | instid1(VALU_DEP_2)
	v_add_lshl_u32 v0, v7, v0, 1
	v_lshlrev_b32_e32 v6, 1, v6
	s_waitcnt lgkmcnt(0)
	s_add_u32 s0, s0, s6
	s_addc_u32 s1, s1, s7
	s_clause 0x1
	global_load_b96 v[1:3], v5, s[0:1]
	global_load_u16 v5, v5, s[0:1] offset:12
	s_lshl_b64 s[0:1], s[4:5], 3
	s_waitcnt vmcnt(1)
	ds_store_b96 v0, v[1:3]
	s_waitcnt vmcnt(0)
	ds_store_b16 v0, v5 offset:12
	; wave barrier
	ds_load_i16 v0, v6
	ds_load_i16 v1, v6 offset:64
	ds_load_i16 v2, v6 offset:128
	;; [unrolled: 1-line block ×6, first 2 shown]
	s_add_u32 s0, s2, s0
	s_addc_u32 s1, s3, s1
	s_waitcnt lgkmcnt(6)
	v_add_nc_u32_e32 v4, 1, v0
	v_lshlrev_b32_e32 v8, 1, v0
	s_waitcnt lgkmcnt(5)
	v_add_nc_u32_e32 v9, 1, v1
	v_lshlrev_b32_e32 v10, 1, v1
	;; [unrolled: 3-line block ×7, first 2 shown]
	v_cvt_f32_i32_e32 v0, v4
	v_cvt_f32_i32_e32 v1, v8
	;; [unrolled: 1-line block ×14, first 2 shown]
	s_clause 0x3
	global_store_b128 v14, v[0:3], s[0:1]
	global_store_b128 v14, v[4:7], s[0:1] offset:16
	global_store_b128 v14, v[8:11], s[0:1] offset:32
	global_store_b64 v14, v[12:13], s[0:1] offset:48
	s_nop 0
	s_sendmsg sendmsg(MSG_DEALLOC_VGPRS)
	s_endpgm
	.section	.rodata,"a",@progbits
	.p2align	6, 0x0
	.amdhsa_kernel _Z30blocked_to_warp_striped_kernelIs5dummyIfELj896ELj7EEvPT_PT0_
		.amdhsa_group_segment_fixed_size 1792
		.amdhsa_private_segment_fixed_size 0
		.amdhsa_kernarg_size 16
		.amdhsa_user_sgpr_count 15
		.amdhsa_user_sgpr_dispatch_ptr 0
		.amdhsa_user_sgpr_queue_ptr 0
		.amdhsa_user_sgpr_kernarg_segment_ptr 1
		.amdhsa_user_sgpr_dispatch_id 0
		.amdhsa_user_sgpr_private_segment_size 0
		.amdhsa_wavefront_size32 1
		.amdhsa_uses_dynamic_stack 0
		.amdhsa_enable_private_segment 0
		.amdhsa_system_sgpr_workgroup_id_x 1
		.amdhsa_system_sgpr_workgroup_id_y 0
		.amdhsa_system_sgpr_workgroup_id_z 0
		.amdhsa_system_sgpr_workgroup_info 0
		.amdhsa_system_vgpr_workitem_id 0
		.amdhsa_next_free_vgpr 22
		.amdhsa_next_free_sgpr 16
		.amdhsa_reserve_vcc 0
		.amdhsa_float_round_mode_32 0
		.amdhsa_float_round_mode_16_64 0
		.amdhsa_float_denorm_mode_32 3
		.amdhsa_float_denorm_mode_16_64 3
		.amdhsa_dx10_clamp 1
		.amdhsa_ieee_mode 1
		.amdhsa_fp16_overflow 0
		.amdhsa_workgroup_processor_mode 1
		.amdhsa_memory_ordered 1
		.amdhsa_forward_progress 0
		.amdhsa_shared_vgpr_count 0
		.amdhsa_exception_fp_ieee_invalid_op 0
		.amdhsa_exception_fp_denorm_src 0
		.amdhsa_exception_fp_ieee_div_zero 0
		.amdhsa_exception_fp_ieee_overflow 0
		.amdhsa_exception_fp_ieee_underflow 0
		.amdhsa_exception_fp_ieee_inexact 0
		.amdhsa_exception_int_div_zero 0
	.end_amdhsa_kernel
	.section	.text._Z30blocked_to_warp_striped_kernelIs5dummyIfELj896ELj7EEvPT_PT0_,"axG",@progbits,_Z30blocked_to_warp_striped_kernelIs5dummyIfELj896ELj7EEvPT_PT0_,comdat
.Lfunc_end45:
	.size	_Z30blocked_to_warp_striped_kernelIs5dummyIfELj896ELj7EEvPT_PT0_, .Lfunc_end45-_Z30blocked_to_warp_striped_kernelIs5dummyIfELj896ELj7EEvPT_PT0_
                                        ; -- End function
	.section	.AMDGPU.csdata,"",@progbits
; Kernel info:
; codeLenInByte = 396
; NumSgprs: 16
; NumVgprs: 22
; ScratchSize: 0
; MemoryBound: 0
; FloatMode: 240
; IeeeMode: 1
; LDSByteSize: 1792 bytes/workgroup (compile time only)
; SGPRBlocks: 1
; VGPRBlocks: 2
; NumSGPRsForWavesPerEU: 16
; NumVGPRsForWavesPerEU: 22
; Occupancy: 16
; WaveLimiterHint : 0
; COMPUTE_PGM_RSRC2:SCRATCH_EN: 0
; COMPUTE_PGM_RSRC2:USER_SGPR: 15
; COMPUTE_PGM_RSRC2:TRAP_HANDLER: 0
; COMPUTE_PGM_RSRC2:TGID_X_EN: 1
; COMPUTE_PGM_RSRC2:TGID_Y_EN: 0
; COMPUTE_PGM_RSRC2:TGID_Z_EN: 0
; COMPUTE_PGM_RSRC2:TIDIG_COMP_CNT: 0
	.section	.text._Z30blocked_to_warp_striped_kernelIiiLj2560ELj5EEvPT_PT0_,"axG",@progbits,_Z30blocked_to_warp_striped_kernelIiiLj2560ELj5EEvPT_PT0_,comdat
	.protected	_Z30blocked_to_warp_striped_kernelIiiLj2560ELj5EEvPT_PT0_ ; -- Begin function _Z30blocked_to_warp_striped_kernelIiiLj2560ELj5EEvPT_PT0_
	.globl	_Z30blocked_to_warp_striped_kernelIiiLj2560ELj5EEvPT_PT0_
	.p2align	8
	.type	_Z30blocked_to_warp_striped_kernelIiiLj2560ELj5EEvPT_PT0_,@function
_Z30blocked_to_warp_striped_kernelIiiLj2560ELj5EEvPT_PT0_: ; @_Z30blocked_to_warp_striped_kernelIiiLj2560ELj5EEvPT_PT0_
; %bb.0:
	s_load_b128 s[0:3], s[0:1], 0x0
	v_mul_u32_u24_e32 v1, 5, v0
	s_mov_b32 s5, 0
	s_mul_i32 s4, s15, 0xa00
	v_lshrrev_b32_e32 v0, 5, v0
	s_lshl_b64 s[4:5], s[4:5], 2
	v_lshlrev_b32_e32 v5, 2, v1
	v_mbcnt_lo_u32_b32 v7, -1, 0
	s_delay_alu instid0(VALU_DEP_3) | instskip(NEXT) | instid1(VALU_DEP_2)
	v_mul_u32_u24_e32 v0, 0xa0, v0
	v_mul_u32_u24_e32 v8, 5, v7
	s_delay_alu instid0(VALU_DEP_2) | instskip(NEXT) | instid1(VALU_DEP_2)
	v_or_b32_e32 v7, v7, v0
	v_add_lshl_u32 v0, v8, v0, 2
	s_delay_alu instid0(VALU_DEP_2)
	v_lshlrev_b32_e32 v7, 2, v7
	s_waitcnt lgkmcnt(0)
	s_add_u32 s0, s0, s4
	s_addc_u32 s1, s1, s5
	s_clause 0x1
	global_load_b128 v[1:4], v5, s[0:1]
	global_load_b32 v6, v5, s[0:1] offset:16
	s_add_u32 s0, s2, s4
	s_addc_u32 s1, s3, s5
	s_waitcnt vmcnt(1)
	ds_store_2addr_b32 v0, v1, v2 offset1:1
	ds_store_2addr_b32 v0, v3, v4 offset0:2 offset1:3
	s_waitcnt vmcnt(0)
	ds_store_b32 v0, v6 offset:16
	; wave barrier
	ds_load_2addr_b32 v[0:1], v7 offset1:32
	ds_load_2addr_b32 v[2:3], v7 offset0:64 offset1:96
	ds_load_b32 v4, v7 offset:512
	s_waitcnt lgkmcnt(1)
	global_store_b128 v5, v[0:3], s[0:1]
	s_waitcnt lgkmcnt(0)
	global_store_b32 v5, v4, s[0:1] offset:16
	s_nop 0
	s_sendmsg sendmsg(MSG_DEALLOC_VGPRS)
	s_endpgm
	.section	.rodata,"a",@progbits
	.p2align	6, 0x0
	.amdhsa_kernel _Z30blocked_to_warp_striped_kernelIiiLj2560ELj5EEvPT_PT0_
		.amdhsa_group_segment_fixed_size 10240
		.amdhsa_private_segment_fixed_size 0
		.amdhsa_kernarg_size 16
		.amdhsa_user_sgpr_count 15
		.amdhsa_user_sgpr_dispatch_ptr 0
		.amdhsa_user_sgpr_queue_ptr 0
		.amdhsa_user_sgpr_kernarg_segment_ptr 1
		.amdhsa_user_sgpr_dispatch_id 0
		.amdhsa_user_sgpr_private_segment_size 0
		.amdhsa_wavefront_size32 1
		.amdhsa_uses_dynamic_stack 0
		.amdhsa_enable_private_segment 0
		.amdhsa_system_sgpr_workgroup_id_x 1
		.amdhsa_system_sgpr_workgroup_id_y 0
		.amdhsa_system_sgpr_workgroup_id_z 0
		.amdhsa_system_sgpr_workgroup_info 0
		.amdhsa_system_vgpr_workitem_id 0
		.amdhsa_next_free_vgpr 9
		.amdhsa_next_free_sgpr 16
		.amdhsa_reserve_vcc 0
		.amdhsa_float_round_mode_32 0
		.amdhsa_float_round_mode_16_64 0
		.amdhsa_float_denorm_mode_32 3
		.amdhsa_float_denorm_mode_16_64 3
		.amdhsa_dx10_clamp 1
		.amdhsa_ieee_mode 1
		.amdhsa_fp16_overflow 0
		.amdhsa_workgroup_processor_mode 1
		.amdhsa_memory_ordered 1
		.amdhsa_forward_progress 0
		.amdhsa_shared_vgpr_count 0
		.amdhsa_exception_fp_ieee_invalid_op 0
		.amdhsa_exception_fp_denorm_src 0
		.amdhsa_exception_fp_ieee_div_zero 0
		.amdhsa_exception_fp_ieee_overflow 0
		.amdhsa_exception_fp_ieee_underflow 0
		.amdhsa_exception_fp_ieee_inexact 0
		.amdhsa_exception_int_div_zero 0
	.end_amdhsa_kernel
	.section	.text._Z30blocked_to_warp_striped_kernelIiiLj2560ELj5EEvPT_PT0_,"axG",@progbits,_Z30blocked_to_warp_striped_kernelIiiLj2560ELj5EEvPT_PT0_,comdat
.Lfunc_end46:
	.size	_Z30blocked_to_warp_striped_kernelIiiLj2560ELj5EEvPT_PT0_, .Lfunc_end46-_Z30blocked_to_warp_striped_kernelIiiLj2560ELj5EEvPT_PT0_
                                        ; -- End function
	.section	.AMDGPU.csdata,"",@progbits
; Kernel info:
; codeLenInByte = 216
; NumSgprs: 16
; NumVgprs: 9
; ScratchSize: 0
; MemoryBound: 0
; FloatMode: 240
; IeeeMode: 1
; LDSByteSize: 10240 bytes/workgroup (compile time only)
; SGPRBlocks: 1
; VGPRBlocks: 1
; NumSGPRsForWavesPerEU: 16
; NumVGPRsForWavesPerEU: 9
; Occupancy: 16
; WaveLimiterHint : 0
; COMPUTE_PGM_RSRC2:SCRATCH_EN: 0
; COMPUTE_PGM_RSRC2:USER_SGPR: 15
; COMPUTE_PGM_RSRC2:TRAP_HANDLER: 0
; COMPUTE_PGM_RSRC2:TGID_X_EN: 1
; COMPUTE_PGM_RSRC2:TGID_Y_EN: 0
; COMPUTE_PGM_RSRC2:TGID_Z_EN: 0
; COMPUTE_PGM_RSRC2:TIDIG_COMP_CNT: 0
	.section	.text._Z30blocked_to_warp_striped_kernelIxxLj1024ELj4EEvPT_PT0_,"axG",@progbits,_Z30blocked_to_warp_striped_kernelIxxLj1024ELj4EEvPT_PT0_,comdat
	.protected	_Z30blocked_to_warp_striped_kernelIxxLj1024ELj4EEvPT_PT0_ ; -- Begin function _Z30blocked_to_warp_striped_kernelIxxLj1024ELj4EEvPT_PT0_
	.globl	_Z30blocked_to_warp_striped_kernelIxxLj1024ELj4EEvPT_PT0_
	.p2align	8
	.type	_Z30blocked_to_warp_striped_kernelIxxLj1024ELj4EEvPT_PT0_,@function
_Z30blocked_to_warp_striped_kernelIxxLj1024ELj4EEvPT_PT0_: ; @_Z30blocked_to_warp_striped_kernelIxxLj1024ELj4EEvPT_PT0_
; %bb.0:
	s_load_b128 s[0:3], s[0:1], 0x0
	s_mov_b32 s5, 0
	s_lshl_b32 s4, s15, 10
	v_lshlrev_b32_e32 v9, 5, v0
	s_lshl_b64 s[4:5], s[4:5], 3
	v_lshlrev_b32_e32 v10, 2, v0
	v_mbcnt_lo_u32_b32 v11, -1, 0
	s_delay_alu instid0(VALU_DEP_2) | instskip(NEXT) | instid1(VALU_DEP_2)
	v_and_b32_e32 v10, 0x780, v10
	v_and_or_b32 v0, 0x1e0, v0, v11
	s_delay_alu instid0(VALU_DEP_2) | instskip(NEXT) | instid1(VALU_DEP_2)
	v_or_b32_e32 v11, v11, v10
	v_lshlrev_b32_e32 v12, 2, v0
	v_bfe_u32 v0, v0, 3, 27
	v_lshrrev_b32_e32 v10, 5, v10
	s_delay_alu instid0(VALU_DEP_4)
	v_or_b32_e32 v13, 32, v11
	s_waitcnt lgkmcnt(0)
	s_add_u32 s0, s0, s4
	s_addc_u32 s1, s1, s5
	s_clause 0x1
	global_load_b128 v[1:4], v9, s[0:1]
	global_load_b128 v[5:8], v9, s[0:1] offset:16
	v_or_b32_e32 v14, 64, v11
	v_or_b32_e32 v15, 0x60, v11
	v_lshrrev_b32_e32 v16, 5, v13
	v_add_lshl_u32 v0, v0, v12, 3
	v_add_lshl_u32 v10, v10, v11, 3
	v_lshrrev_b32_e32 v17, 5, v14
	v_lshrrev_b32_e32 v18, 5, v15
	v_add_lshl_u32 v11, v16, v13, 3
	s_add_u32 s0, s2, s4
	s_addc_u32 s1, s3, s5
	v_add_lshl_u32 v12, v17, v14, 3
	v_add_lshl_u32 v13, v18, v15, 3
	s_waitcnt vmcnt(1)
	ds_store_2addr_b64 v0, v[1:2], v[3:4] offset1:1
	s_waitcnt vmcnt(0)
	ds_store_2addr_b64 v0, v[5:6], v[7:8] offset0:2 offset1:3
	; wave barrier
	ds_load_b64 v[0:1], v10
	ds_load_b64 v[2:3], v11
	;; [unrolled: 1-line block ×4, first 2 shown]
	s_waitcnt lgkmcnt(2)
	global_store_b128 v9, v[0:3], s[0:1]
	s_waitcnt lgkmcnt(0)
	global_store_b128 v9, v[4:7], s[0:1] offset:16
	s_nop 0
	s_sendmsg sendmsg(MSG_DEALLOC_VGPRS)
	s_endpgm
	.section	.rodata,"a",@progbits
	.p2align	6, 0x0
	.amdhsa_kernel _Z30blocked_to_warp_striped_kernelIxxLj1024ELj4EEvPT_PT0_
		.amdhsa_group_segment_fixed_size 8448
		.amdhsa_private_segment_fixed_size 0
		.amdhsa_kernarg_size 16
		.amdhsa_user_sgpr_count 15
		.amdhsa_user_sgpr_dispatch_ptr 0
		.amdhsa_user_sgpr_queue_ptr 0
		.amdhsa_user_sgpr_kernarg_segment_ptr 1
		.amdhsa_user_sgpr_dispatch_id 0
		.amdhsa_user_sgpr_private_segment_size 0
		.amdhsa_wavefront_size32 1
		.amdhsa_uses_dynamic_stack 0
		.amdhsa_enable_private_segment 0
		.amdhsa_system_sgpr_workgroup_id_x 1
		.amdhsa_system_sgpr_workgroup_id_y 0
		.amdhsa_system_sgpr_workgroup_id_z 0
		.amdhsa_system_sgpr_workgroup_info 0
		.amdhsa_system_vgpr_workitem_id 0
		.amdhsa_next_free_vgpr 19
		.amdhsa_next_free_sgpr 16
		.amdhsa_reserve_vcc 0
		.amdhsa_float_round_mode_32 0
		.amdhsa_float_round_mode_16_64 0
		.amdhsa_float_denorm_mode_32 3
		.amdhsa_float_denorm_mode_16_64 3
		.amdhsa_dx10_clamp 1
		.amdhsa_ieee_mode 1
		.amdhsa_fp16_overflow 0
		.amdhsa_workgroup_processor_mode 1
		.amdhsa_memory_ordered 1
		.amdhsa_forward_progress 0
		.amdhsa_shared_vgpr_count 0
		.amdhsa_exception_fp_ieee_invalid_op 0
		.amdhsa_exception_fp_denorm_src 0
		.amdhsa_exception_fp_ieee_div_zero 0
		.amdhsa_exception_fp_ieee_overflow 0
		.amdhsa_exception_fp_ieee_underflow 0
		.amdhsa_exception_fp_ieee_inexact 0
		.amdhsa_exception_int_div_zero 0
	.end_amdhsa_kernel
	.section	.text._Z30blocked_to_warp_striped_kernelIxxLj1024ELj4EEvPT_PT0_,"axG",@progbits,_Z30blocked_to_warp_striped_kernelIxxLj1024ELj4EEvPT_PT0_,comdat
.Lfunc_end47:
	.size	_Z30blocked_to_warp_striped_kernelIxxLj1024ELj4EEvPT_PT0_, .Lfunc_end47-_Z30blocked_to_warp_striped_kernelIxxLj1024ELj4EEvPT_PT0_
                                        ; -- End function
	.section	.AMDGPU.csdata,"",@progbits
; Kernel info:
; codeLenInByte = 288
; NumSgprs: 16
; NumVgprs: 19
; ScratchSize: 0
; MemoryBound: 0
; FloatMode: 240
; IeeeMode: 1
; LDSByteSize: 8448 bytes/workgroup (compile time only)
; SGPRBlocks: 1
; VGPRBlocks: 2
; NumSGPRsForWavesPerEU: 16
; NumVGPRsForWavesPerEU: 19
; Occupancy: 16
; WaveLimiterHint : 0
; COMPUTE_PGM_RSRC2:SCRATCH_EN: 0
; COMPUTE_PGM_RSRC2:USER_SGPR: 15
; COMPUTE_PGM_RSRC2:TRAP_HANDLER: 0
; COMPUTE_PGM_RSRC2:TGID_X_EN: 1
; COMPUTE_PGM_RSRC2:TGID_Y_EN: 0
; COMPUTE_PGM_RSRC2:TGID_Z_EN: 0
; COMPUTE_PGM_RSRC2:TIDIG_COMP_CNT: 0
	.section	.text._Z30blocked_to_warp_striped_kernelIiiLj128ELj2EEvPT_PT0_,"axG",@progbits,_Z30blocked_to_warp_striped_kernelIiiLj128ELj2EEvPT_PT0_,comdat
	.protected	_Z30blocked_to_warp_striped_kernelIiiLj128ELj2EEvPT_PT0_ ; -- Begin function _Z30blocked_to_warp_striped_kernelIiiLj128ELj2EEvPT_PT0_
	.globl	_Z30blocked_to_warp_striped_kernelIiiLj128ELj2EEvPT_PT0_
	.p2align	8
	.type	_Z30blocked_to_warp_striped_kernelIiiLj128ELj2EEvPT_PT0_,@function
_Z30blocked_to_warp_striped_kernelIiiLj128ELj2EEvPT_PT0_: ; @_Z30blocked_to_warp_striped_kernelIiiLj128ELj2EEvPT_PT0_
; %bb.0:
	s_load_b128 s[0:3], s[0:1], 0x0
	s_mov_b32 s5, 0
	s_lshl_b32 s4, s15, 7
	v_lshlrev_b32_e32 v3, 3, v0
	s_lshl_b64 s[4:5], s[4:5], 2
	v_lshlrev_b32_e32 v4, 1, v0
	v_mbcnt_lo_u32_b32 v5, -1, 0
	s_delay_alu instid0(VALU_DEP_2) | instskip(NEXT) | instid1(VALU_DEP_2)
	v_and_b32_e32 v4, 0x3c0, v4
	v_and_or_b32 v0, 0x1e0, v0, v5
	s_delay_alu instid0(VALU_DEP_2) | instskip(NEXT) | instid1(VALU_DEP_2)
	v_or_b32_e32 v5, v5, v4
	v_lshlrev_b32_e32 v6, 1, v0
	v_bfe_u32 v0, v0, 4, 27
	v_lshrrev_b32_e32 v4, 5, v4
	s_delay_alu instid0(VALU_DEP_4)
	v_or_b32_e32 v7, 32, v5
	s_waitcnt lgkmcnt(0)
	s_add_u32 s0, s0, s4
	s_addc_u32 s1, s1, s5
	v_add_lshl_u32 v0, v0, v6, 2
	global_load_b64 v[1:2], v3, s[0:1]
	v_lshrrev_b32_e32 v8, 5, v7
	v_add_lshl_u32 v4, v4, v5, 2
	s_add_u32 s0, s2, s4
	s_addc_u32 s1, s3, s5
	s_delay_alu instid0(VALU_DEP_2)
	v_add_lshl_u32 v5, v8, v7, 2
	s_waitcnt vmcnt(0)
	ds_store_2addr_b32 v0, v1, v2 offset1:1
	; wave barrier
	ds_load_b32 v0, v4
	ds_load_b32 v1, v5
	s_waitcnt lgkmcnt(0)
	global_store_b64 v3, v[0:1], s[0:1]
	s_nop 0
	s_sendmsg sendmsg(MSG_DEALLOC_VGPRS)
	s_endpgm
	.section	.rodata,"a",@progbits
	.p2align	6, 0x0
	.amdhsa_kernel _Z30blocked_to_warp_striped_kernelIiiLj128ELj2EEvPT_PT0_
		.amdhsa_group_segment_fixed_size 528
		.amdhsa_private_segment_fixed_size 0
		.amdhsa_kernarg_size 16
		.amdhsa_user_sgpr_count 15
		.amdhsa_user_sgpr_dispatch_ptr 0
		.amdhsa_user_sgpr_queue_ptr 0
		.amdhsa_user_sgpr_kernarg_segment_ptr 1
		.amdhsa_user_sgpr_dispatch_id 0
		.amdhsa_user_sgpr_private_segment_size 0
		.amdhsa_wavefront_size32 1
		.amdhsa_uses_dynamic_stack 0
		.amdhsa_enable_private_segment 0
		.amdhsa_system_sgpr_workgroup_id_x 1
		.amdhsa_system_sgpr_workgroup_id_y 0
		.amdhsa_system_sgpr_workgroup_id_z 0
		.amdhsa_system_sgpr_workgroup_info 0
		.amdhsa_system_vgpr_workitem_id 0
		.amdhsa_next_free_vgpr 9
		.amdhsa_next_free_sgpr 16
		.amdhsa_reserve_vcc 0
		.amdhsa_float_round_mode_32 0
		.amdhsa_float_round_mode_16_64 0
		.amdhsa_float_denorm_mode_32 3
		.amdhsa_float_denorm_mode_16_64 3
		.amdhsa_dx10_clamp 1
		.amdhsa_ieee_mode 1
		.amdhsa_fp16_overflow 0
		.amdhsa_workgroup_processor_mode 1
		.amdhsa_memory_ordered 1
		.amdhsa_forward_progress 0
		.amdhsa_shared_vgpr_count 0
		.amdhsa_exception_fp_ieee_invalid_op 0
		.amdhsa_exception_fp_denorm_src 0
		.amdhsa_exception_fp_ieee_div_zero 0
		.amdhsa_exception_fp_ieee_overflow 0
		.amdhsa_exception_fp_ieee_underflow 0
		.amdhsa_exception_fp_ieee_inexact 0
		.amdhsa_exception_int_div_zero 0
	.end_amdhsa_kernel
	.section	.text._Z30blocked_to_warp_striped_kernelIiiLj128ELj2EEvPT_PT0_,"axG",@progbits,_Z30blocked_to_warp_striped_kernelIiiLj128ELj2EEvPT_PT0_,comdat
.Lfunc_end48:
	.size	_Z30blocked_to_warp_striped_kernelIiiLj128ELj2EEvPT_PT0_, .Lfunc_end48-_Z30blocked_to_warp_striped_kernelIiiLj128ELj2EEvPT_PT0_
                                        ; -- End function
	.section	.AMDGPU.csdata,"",@progbits
; Kernel info:
; codeLenInByte = 204
; NumSgprs: 16
; NumVgprs: 9
; ScratchSize: 0
; MemoryBound: 0
; FloatMode: 240
; IeeeMode: 1
; LDSByteSize: 528 bytes/workgroup (compile time only)
; SGPRBlocks: 1
; VGPRBlocks: 1
; NumSGPRsForWavesPerEU: 16
; NumVGPRsForWavesPerEU: 9
; Occupancy: 16
; WaveLimiterHint : 0
; COMPUTE_PGM_RSRC2:SCRATCH_EN: 0
; COMPUTE_PGM_RSRC2:USER_SGPR: 15
; COMPUTE_PGM_RSRC2:TRAP_HANDLER: 0
; COMPUTE_PGM_RSRC2:TGID_X_EN: 1
; COMPUTE_PGM_RSRC2:TGID_Y_EN: 0
; COMPUTE_PGM_RSRC2:TGID_Z_EN: 0
; COMPUTE_PGM_RSRC2:TIDIG_COMP_CNT: 0
	.section	.text._Z30blocked_to_warp_striped_kernelIxxLj512ELj1EEvPT_PT0_,"axG",@progbits,_Z30blocked_to_warp_striped_kernelIxxLj512ELj1EEvPT_PT0_,comdat
	.protected	_Z30blocked_to_warp_striped_kernelIxxLj512ELj1EEvPT_PT0_ ; -- Begin function _Z30blocked_to_warp_striped_kernelIxxLj512ELj1EEvPT_PT0_
	.globl	_Z30blocked_to_warp_striped_kernelIxxLj512ELj1EEvPT_PT0_
	.p2align	8
	.type	_Z30blocked_to_warp_striped_kernelIxxLj512ELj1EEvPT_PT0_,@function
_Z30blocked_to_warp_striped_kernelIxxLj512ELj1EEvPT_PT0_: ; @_Z30blocked_to_warp_striped_kernelIxxLj512ELj1EEvPT_PT0_
; %bb.0:
	s_load_b128 s[0:3], s[0:1], 0x0
	s_mov_b32 s5, 0
	s_lshl_b32 s4, s15, 9
	v_lshlrev_b32_e32 v3, 3, v0
	s_lshl_b64 s[4:5], s[4:5], 3
	v_mbcnt_lo_u32_b32 v4, -1, 0
	s_delay_alu instid0(VALU_DEP_1) | instskip(NEXT) | instid1(VALU_DEP_1)
	v_and_or_b32 v0, 0x1e0, v0, v4
	v_lshlrev_b32_e32 v0, 3, v0
	s_waitcnt lgkmcnt(0)
	s_add_u32 s0, s0, s4
	s_addc_u32 s1, s1, s5
	global_load_b64 v[1:2], v3, s[0:1]
	s_add_u32 s0, s2, s4
	s_addc_u32 s1, s3, s5
	s_waitcnt vmcnt(0)
	ds_store_b64 v0, v[1:2]
	; wave barrier
	ds_load_b64 v[0:1], v0
	s_waitcnt lgkmcnt(0)
	global_store_b64 v3, v[0:1], s[0:1]
	s_nop 0
	s_sendmsg sendmsg(MSG_DEALLOC_VGPRS)
	s_endpgm
	.section	.rodata,"a",@progbits
	.p2align	6, 0x0
	.amdhsa_kernel _Z30blocked_to_warp_striped_kernelIxxLj512ELj1EEvPT_PT0_
		.amdhsa_group_segment_fixed_size 4096
		.amdhsa_private_segment_fixed_size 0
		.amdhsa_kernarg_size 16
		.amdhsa_user_sgpr_count 15
		.amdhsa_user_sgpr_dispatch_ptr 0
		.amdhsa_user_sgpr_queue_ptr 0
		.amdhsa_user_sgpr_kernarg_segment_ptr 1
		.amdhsa_user_sgpr_dispatch_id 0
		.amdhsa_user_sgpr_private_segment_size 0
		.amdhsa_wavefront_size32 1
		.amdhsa_uses_dynamic_stack 0
		.amdhsa_enable_private_segment 0
		.amdhsa_system_sgpr_workgroup_id_x 1
		.amdhsa_system_sgpr_workgroup_id_y 0
		.amdhsa_system_sgpr_workgroup_id_z 0
		.amdhsa_system_sgpr_workgroup_info 0
		.amdhsa_system_vgpr_workitem_id 0
		.amdhsa_next_free_vgpr 5
		.amdhsa_next_free_sgpr 16
		.amdhsa_reserve_vcc 0
		.amdhsa_float_round_mode_32 0
		.amdhsa_float_round_mode_16_64 0
		.amdhsa_float_denorm_mode_32 3
		.amdhsa_float_denorm_mode_16_64 3
		.amdhsa_dx10_clamp 1
		.amdhsa_ieee_mode 1
		.amdhsa_fp16_overflow 0
		.amdhsa_workgroup_processor_mode 1
		.amdhsa_memory_ordered 1
		.amdhsa_forward_progress 0
		.amdhsa_shared_vgpr_count 0
		.amdhsa_exception_fp_ieee_invalid_op 0
		.amdhsa_exception_fp_denorm_src 0
		.amdhsa_exception_fp_ieee_div_zero 0
		.amdhsa_exception_fp_ieee_overflow 0
		.amdhsa_exception_fp_ieee_underflow 0
		.amdhsa_exception_fp_ieee_inexact 0
		.amdhsa_exception_int_div_zero 0
	.end_amdhsa_kernel
	.section	.text._Z30blocked_to_warp_striped_kernelIxxLj512ELj1EEvPT_PT0_,"axG",@progbits,_Z30blocked_to_warp_striped_kernelIxxLj512ELj1EEvPT_PT0_,comdat
.Lfunc_end49:
	.size	_Z30blocked_to_warp_striped_kernelIxxLj512ELj1EEvPT_PT0_, .Lfunc_end49-_Z30blocked_to_warp_striped_kernelIxxLj512ELj1EEvPT_PT0_
                                        ; -- End function
	.section	.AMDGPU.csdata,"",@progbits
; Kernel info:
; codeLenInByte = 124
; NumSgprs: 16
; NumVgprs: 5
; ScratchSize: 0
; MemoryBound: 0
; FloatMode: 240
; IeeeMode: 1
; LDSByteSize: 4096 bytes/workgroup (compile time only)
; SGPRBlocks: 1
; VGPRBlocks: 0
; NumSGPRsForWavesPerEU: 16
; NumVGPRsForWavesPerEU: 5
; Occupancy: 16
; WaveLimiterHint : 0
; COMPUTE_PGM_RSRC2:SCRATCH_EN: 0
; COMPUTE_PGM_RSRC2:USER_SGPR: 15
; COMPUTE_PGM_RSRC2:TRAP_HANDLER: 0
; COMPUTE_PGM_RSRC2:TGID_X_EN: 1
; COMPUTE_PGM_RSRC2:TGID_Y_EN: 0
; COMPUTE_PGM_RSRC2:TGID_Z_EN: 0
; COMPUTE_PGM_RSRC2:TIDIG_COMP_CNT: 0
	.section	.text._Z30blocked_to_warp_striped_kernelIs5dummyIiELj256ELj1EEvPT_PT0_,"axG",@progbits,_Z30blocked_to_warp_striped_kernelIs5dummyIiELj256ELj1EEvPT_PT0_,comdat
	.protected	_Z30blocked_to_warp_striped_kernelIs5dummyIiELj256ELj1EEvPT_PT0_ ; -- Begin function _Z30blocked_to_warp_striped_kernelIs5dummyIiELj256ELj1EEvPT_PT0_
	.globl	_Z30blocked_to_warp_striped_kernelIs5dummyIiELj256ELj1EEvPT_PT0_
	.p2align	8
	.type	_Z30blocked_to_warp_striped_kernelIs5dummyIiELj256ELj1EEvPT_PT0_,@function
_Z30blocked_to_warp_striped_kernelIs5dummyIiELj256ELj1EEvPT_PT0_: ; @_Z30blocked_to_warp_striped_kernelIs5dummyIiELj256ELj1EEvPT_PT0_
; %bb.0:
	s_load_b128 s[0:3], s[0:1], 0x0
	s_mov_b32 s5, 0
	s_lshl_b32 s4, s15, 8
	v_lshlrev_b32_e32 v1, 1, v0
	s_lshl_b64 s[6:7], s[4:5], 1
	v_mbcnt_lo_u32_b32 v2, -1, 0
	s_delay_alu instid0(VALU_DEP_1) | instskip(SKIP_1) | instid1(VALU_DEP_2)
	v_and_or_b32 v2, 0x1e0, v0, v2
	v_lshlrev_b32_e32 v0, 3, v0
	v_lshlrev_b32_e32 v2, 1, v2
	s_waitcnt lgkmcnt(0)
	s_add_u32 s0, s0, s6
	s_addc_u32 s1, s1, s7
	global_load_u16 v1, v1, s[0:1]
	s_lshl_b64 s[0:1], s[4:5], 3
	s_delay_alu instid0(SALU_CYCLE_1)
	s_add_u32 s0, s2, s0
	s_addc_u32 s1, s3, s1
	s_waitcnt vmcnt(0)
	ds_store_b16 v2, v1
	; wave barrier
	ds_load_i16 v1, v2
	s_waitcnt lgkmcnt(0)
	v_lshlrev_b32_e32 v2, 1, v1
	v_add_nc_u32_e32 v1, 1, v1
	global_store_b64 v0, v[1:2], s[0:1]
	s_nop 0
	s_sendmsg sendmsg(MSG_DEALLOC_VGPRS)
	s_endpgm
	.section	.rodata,"a",@progbits
	.p2align	6, 0x0
	.amdhsa_kernel _Z30blocked_to_warp_striped_kernelIs5dummyIiELj256ELj1EEvPT_PT0_
		.amdhsa_group_segment_fixed_size 512
		.amdhsa_private_segment_fixed_size 0
		.amdhsa_kernarg_size 16
		.amdhsa_user_sgpr_count 15
		.amdhsa_user_sgpr_dispatch_ptr 0
		.amdhsa_user_sgpr_queue_ptr 0
		.amdhsa_user_sgpr_kernarg_segment_ptr 1
		.amdhsa_user_sgpr_dispatch_id 0
		.amdhsa_user_sgpr_private_segment_size 0
		.amdhsa_wavefront_size32 1
		.amdhsa_uses_dynamic_stack 0
		.amdhsa_enable_private_segment 0
		.amdhsa_system_sgpr_workgroup_id_x 1
		.amdhsa_system_sgpr_workgroup_id_y 0
		.amdhsa_system_sgpr_workgroup_id_z 0
		.amdhsa_system_sgpr_workgroup_info 0
		.amdhsa_system_vgpr_workitem_id 0
		.amdhsa_next_free_vgpr 3
		.amdhsa_next_free_sgpr 16
		.amdhsa_reserve_vcc 0
		.amdhsa_float_round_mode_32 0
		.amdhsa_float_round_mode_16_64 0
		.amdhsa_float_denorm_mode_32 3
		.amdhsa_float_denorm_mode_16_64 3
		.amdhsa_dx10_clamp 1
		.amdhsa_ieee_mode 1
		.amdhsa_fp16_overflow 0
		.amdhsa_workgroup_processor_mode 1
		.amdhsa_memory_ordered 1
		.amdhsa_forward_progress 0
		.amdhsa_shared_vgpr_count 0
		.amdhsa_exception_fp_ieee_invalid_op 0
		.amdhsa_exception_fp_denorm_src 0
		.amdhsa_exception_fp_ieee_div_zero 0
		.amdhsa_exception_fp_ieee_overflow 0
		.amdhsa_exception_fp_ieee_underflow 0
		.amdhsa_exception_fp_ieee_inexact 0
		.amdhsa_exception_int_div_zero 0
	.end_amdhsa_kernel
	.section	.text._Z30blocked_to_warp_striped_kernelIs5dummyIiELj256ELj1EEvPT_PT0_,"axG",@progbits,_Z30blocked_to_warp_striped_kernelIs5dummyIiELj256ELj1EEvPT_PT0_,comdat
.Lfunc_end50:
	.size	_Z30blocked_to_warp_striped_kernelIs5dummyIiELj256ELj1EEvPT_PT0_, .Lfunc_end50-_Z30blocked_to_warp_striped_kernelIs5dummyIiELj256ELj1EEvPT_PT0_
                                        ; -- End function
	.section	.AMDGPU.csdata,"",@progbits
; Kernel info:
; codeLenInByte = 144
; NumSgprs: 16
; NumVgprs: 3
; ScratchSize: 0
; MemoryBound: 0
; FloatMode: 240
; IeeeMode: 1
; LDSByteSize: 512 bytes/workgroup (compile time only)
; SGPRBlocks: 1
; VGPRBlocks: 0
; NumSGPRsForWavesPerEU: 16
; NumVGPRsForWavesPerEU: 3
; Occupancy: 16
; WaveLimiterHint : 0
; COMPUTE_PGM_RSRC2:SCRATCH_EN: 0
; COMPUTE_PGM_RSRC2:USER_SGPR: 15
; COMPUTE_PGM_RSRC2:TRAP_HANDLER: 0
; COMPUTE_PGM_RSRC2:TGID_X_EN: 1
; COMPUTE_PGM_RSRC2:TGID_Y_EN: 0
; COMPUTE_PGM_RSRC2:TGID_Z_EN: 0
; COMPUTE_PGM_RSRC2:TIDIG_COMP_CNT: 0
	.section	.text._Z30blocked_to_warp_striped_kernelIyyLj128ELj1EEvPT_PT0_,"axG",@progbits,_Z30blocked_to_warp_striped_kernelIyyLj128ELj1EEvPT_PT0_,comdat
	.protected	_Z30blocked_to_warp_striped_kernelIyyLj128ELj1EEvPT_PT0_ ; -- Begin function _Z30blocked_to_warp_striped_kernelIyyLj128ELj1EEvPT_PT0_
	.globl	_Z30blocked_to_warp_striped_kernelIyyLj128ELj1EEvPT_PT0_
	.p2align	8
	.type	_Z30blocked_to_warp_striped_kernelIyyLj128ELj1EEvPT_PT0_,@function
_Z30blocked_to_warp_striped_kernelIyyLj128ELj1EEvPT_PT0_: ; @_Z30blocked_to_warp_striped_kernelIyyLj128ELj1EEvPT_PT0_
; %bb.0:
	s_load_b128 s[0:3], s[0:1], 0x0
	s_mov_b32 s5, 0
	s_lshl_b32 s4, s15, 7
	v_lshlrev_b32_e32 v3, 3, v0
	s_lshl_b64 s[4:5], s[4:5], 3
	v_mbcnt_lo_u32_b32 v4, -1, 0
	s_delay_alu instid0(VALU_DEP_1) | instskip(NEXT) | instid1(VALU_DEP_1)
	v_and_or_b32 v0, 0x1e0, v0, v4
	v_lshlrev_b32_e32 v0, 3, v0
	s_waitcnt lgkmcnt(0)
	s_add_u32 s0, s0, s4
	s_addc_u32 s1, s1, s5
	global_load_b64 v[1:2], v3, s[0:1]
	s_add_u32 s0, s2, s4
	s_addc_u32 s1, s3, s5
	s_waitcnt vmcnt(0)
	ds_store_b64 v0, v[1:2]
	; wave barrier
	ds_load_b64 v[0:1], v0
	s_waitcnt lgkmcnt(0)
	global_store_b64 v3, v[0:1], s[0:1]
	s_nop 0
	s_sendmsg sendmsg(MSG_DEALLOC_VGPRS)
	s_endpgm
	.section	.rodata,"a",@progbits
	.p2align	6, 0x0
	.amdhsa_kernel _Z30blocked_to_warp_striped_kernelIyyLj128ELj1EEvPT_PT0_
		.amdhsa_group_segment_fixed_size 1024
		.amdhsa_private_segment_fixed_size 0
		.amdhsa_kernarg_size 16
		.amdhsa_user_sgpr_count 15
		.amdhsa_user_sgpr_dispatch_ptr 0
		.amdhsa_user_sgpr_queue_ptr 0
		.amdhsa_user_sgpr_kernarg_segment_ptr 1
		.amdhsa_user_sgpr_dispatch_id 0
		.amdhsa_user_sgpr_private_segment_size 0
		.amdhsa_wavefront_size32 1
		.amdhsa_uses_dynamic_stack 0
		.amdhsa_enable_private_segment 0
		.amdhsa_system_sgpr_workgroup_id_x 1
		.amdhsa_system_sgpr_workgroup_id_y 0
		.amdhsa_system_sgpr_workgroup_id_z 0
		.amdhsa_system_sgpr_workgroup_info 0
		.amdhsa_system_vgpr_workitem_id 0
		.amdhsa_next_free_vgpr 5
		.amdhsa_next_free_sgpr 16
		.amdhsa_reserve_vcc 0
		.amdhsa_float_round_mode_32 0
		.amdhsa_float_round_mode_16_64 0
		.amdhsa_float_denorm_mode_32 3
		.amdhsa_float_denorm_mode_16_64 3
		.amdhsa_dx10_clamp 1
		.amdhsa_ieee_mode 1
		.amdhsa_fp16_overflow 0
		.amdhsa_workgroup_processor_mode 1
		.amdhsa_memory_ordered 1
		.amdhsa_forward_progress 0
		.amdhsa_shared_vgpr_count 0
		.amdhsa_exception_fp_ieee_invalid_op 0
		.amdhsa_exception_fp_denorm_src 0
		.amdhsa_exception_fp_ieee_div_zero 0
		.amdhsa_exception_fp_ieee_overflow 0
		.amdhsa_exception_fp_ieee_underflow 0
		.amdhsa_exception_fp_ieee_inexact 0
		.amdhsa_exception_int_div_zero 0
	.end_amdhsa_kernel
	.section	.text._Z30blocked_to_warp_striped_kernelIyyLj128ELj1EEvPT_PT0_,"axG",@progbits,_Z30blocked_to_warp_striped_kernelIyyLj128ELj1EEvPT_PT0_,comdat
.Lfunc_end51:
	.size	_Z30blocked_to_warp_striped_kernelIyyLj128ELj1EEvPT_PT0_, .Lfunc_end51-_Z30blocked_to_warp_striped_kernelIyyLj128ELj1EEvPT_PT0_
                                        ; -- End function
	.section	.AMDGPU.csdata,"",@progbits
; Kernel info:
; codeLenInByte = 124
; NumSgprs: 16
; NumVgprs: 5
; ScratchSize: 0
; MemoryBound: 0
; FloatMode: 240
; IeeeMode: 1
; LDSByteSize: 1024 bytes/workgroup (compile time only)
; SGPRBlocks: 1
; VGPRBlocks: 0
; NumSGPRsForWavesPerEU: 16
; NumVGPRsForWavesPerEU: 5
; Occupancy: 16
; WaveLimiterHint : 0
; COMPUTE_PGM_RSRC2:SCRATCH_EN: 0
; COMPUTE_PGM_RSRC2:USER_SGPR: 15
; COMPUTE_PGM_RSRC2:TRAP_HANDLER: 0
; COMPUTE_PGM_RSRC2:TGID_X_EN: 1
; COMPUTE_PGM_RSRC2:TGID_Y_EN: 0
; COMPUTE_PGM_RSRC2:TGID_Z_EN: 0
; COMPUTE_PGM_RSRC2:TIDIG_COMP_CNT: 0
	.section	.text._Z30blocked_to_warp_striped_kernelIixLj64ELj1EEvPT_PT0_,"axG",@progbits,_Z30blocked_to_warp_striped_kernelIixLj64ELj1EEvPT_PT0_,comdat
	.protected	_Z30blocked_to_warp_striped_kernelIixLj64ELj1EEvPT_PT0_ ; -- Begin function _Z30blocked_to_warp_striped_kernelIixLj64ELj1EEvPT_PT0_
	.globl	_Z30blocked_to_warp_striped_kernelIixLj64ELj1EEvPT_PT0_
	.p2align	8
	.type	_Z30blocked_to_warp_striped_kernelIixLj64ELj1EEvPT_PT0_,@function
_Z30blocked_to_warp_striped_kernelIixLj64ELj1EEvPT_PT0_: ; @_Z30blocked_to_warp_striped_kernelIixLj64ELj1EEvPT_PT0_
; %bb.0:
	s_load_b128 s[0:3], s[0:1], 0x0
	s_mov_b32 s5, 0
	s_lshl_b32 s4, s15, 6
	v_lshlrev_b32_e32 v1, 2, v0
	s_lshl_b64 s[6:7], s[4:5], 2
	v_mbcnt_lo_u32_b32 v2, -1, 0
	s_delay_alu instid0(VALU_DEP_1) | instskip(SKIP_1) | instid1(VALU_DEP_2)
	v_and_or_b32 v2, 0x1e0, v0, v2
	v_lshlrev_b32_e32 v0, 3, v0
	v_lshlrev_b32_e32 v2, 2, v2
	s_waitcnt lgkmcnt(0)
	s_add_u32 s0, s0, s6
	s_addc_u32 s1, s1, s7
	global_load_b32 v1, v1, s[0:1]
	s_lshl_b64 s[0:1], s[4:5], 3
	s_delay_alu instid0(SALU_CYCLE_1)
	s_add_u32 s0, s2, s0
	s_addc_u32 s1, s3, s1
	s_waitcnt vmcnt(0)
	ds_store_b32 v2, v1
	; wave barrier
	ds_load_b32 v1, v2
	s_waitcnt lgkmcnt(0)
	v_ashrrev_i32_e32 v2, 31, v1
	global_store_b64 v0, v[1:2], s[0:1]
	s_nop 0
	s_sendmsg sendmsg(MSG_DEALLOC_VGPRS)
	s_endpgm
	.section	.rodata,"a",@progbits
	.p2align	6, 0x0
	.amdhsa_kernel _Z30blocked_to_warp_striped_kernelIixLj64ELj1EEvPT_PT0_
		.amdhsa_group_segment_fixed_size 256
		.amdhsa_private_segment_fixed_size 0
		.amdhsa_kernarg_size 16
		.amdhsa_user_sgpr_count 15
		.amdhsa_user_sgpr_dispatch_ptr 0
		.amdhsa_user_sgpr_queue_ptr 0
		.amdhsa_user_sgpr_kernarg_segment_ptr 1
		.amdhsa_user_sgpr_dispatch_id 0
		.amdhsa_user_sgpr_private_segment_size 0
		.amdhsa_wavefront_size32 1
		.amdhsa_uses_dynamic_stack 0
		.amdhsa_enable_private_segment 0
		.amdhsa_system_sgpr_workgroup_id_x 1
		.amdhsa_system_sgpr_workgroup_id_y 0
		.amdhsa_system_sgpr_workgroup_id_z 0
		.amdhsa_system_sgpr_workgroup_info 0
		.amdhsa_system_vgpr_workitem_id 0
		.amdhsa_next_free_vgpr 3
		.amdhsa_next_free_sgpr 16
		.amdhsa_reserve_vcc 0
		.amdhsa_float_round_mode_32 0
		.amdhsa_float_round_mode_16_64 0
		.amdhsa_float_denorm_mode_32 3
		.amdhsa_float_denorm_mode_16_64 3
		.amdhsa_dx10_clamp 1
		.amdhsa_ieee_mode 1
		.amdhsa_fp16_overflow 0
		.amdhsa_workgroup_processor_mode 1
		.amdhsa_memory_ordered 1
		.amdhsa_forward_progress 0
		.amdhsa_shared_vgpr_count 0
		.amdhsa_exception_fp_ieee_invalid_op 0
		.amdhsa_exception_fp_denorm_src 0
		.amdhsa_exception_fp_ieee_div_zero 0
		.amdhsa_exception_fp_ieee_overflow 0
		.amdhsa_exception_fp_ieee_underflow 0
		.amdhsa_exception_fp_ieee_inexact 0
		.amdhsa_exception_int_div_zero 0
	.end_amdhsa_kernel
	.section	.text._Z30blocked_to_warp_striped_kernelIixLj64ELj1EEvPT_PT0_,"axG",@progbits,_Z30blocked_to_warp_striped_kernelIixLj64ELj1EEvPT_PT0_,comdat
.Lfunc_end52:
	.size	_Z30blocked_to_warp_striped_kernelIixLj64ELj1EEvPT_PT0_, .Lfunc_end52-_Z30blocked_to_warp_striped_kernelIixLj64ELj1EEvPT_PT0_
                                        ; -- End function
	.section	.AMDGPU.csdata,"",@progbits
; Kernel info:
; codeLenInByte = 140
; NumSgprs: 16
; NumVgprs: 3
; ScratchSize: 0
; MemoryBound: 0
; FloatMode: 240
; IeeeMode: 1
; LDSByteSize: 256 bytes/workgroup (compile time only)
; SGPRBlocks: 1
; VGPRBlocks: 0
; NumSGPRsForWavesPerEU: 16
; NumVGPRsForWavesPerEU: 3
; Occupancy: 16
; WaveLimiterHint : 0
; COMPUTE_PGM_RSRC2:SCRATCH_EN: 0
; COMPUTE_PGM_RSRC2:USER_SGPR: 15
; COMPUTE_PGM_RSRC2:TRAP_HANDLER: 0
; COMPUTE_PGM_RSRC2:TGID_X_EN: 1
; COMPUTE_PGM_RSRC2:TGID_Y_EN: 0
; COMPUTE_PGM_RSRC2:TGID_Z_EN: 0
; COMPUTE_PGM_RSRC2:TIDIG_COMP_CNT: 0
	.section	.text._Z30blocked_to_warp_striped_kernelI6__halfS0_Lj512ELj4EEvPT_PT0_,"axG",@progbits,_Z30blocked_to_warp_striped_kernelI6__halfS0_Lj512ELj4EEvPT_PT0_,comdat
	.protected	_Z30blocked_to_warp_striped_kernelI6__halfS0_Lj512ELj4EEvPT_PT0_ ; -- Begin function _Z30blocked_to_warp_striped_kernelI6__halfS0_Lj512ELj4EEvPT_PT0_
	.globl	_Z30blocked_to_warp_striped_kernelI6__halfS0_Lj512ELj4EEvPT_PT0_
	.p2align	8
	.type	_Z30blocked_to_warp_striped_kernelI6__halfS0_Lj512ELj4EEvPT_PT0_,@function
_Z30blocked_to_warp_striped_kernelI6__halfS0_Lj512ELj4EEvPT_PT0_: ; @_Z30blocked_to_warp_striped_kernelI6__halfS0_Lj512ELj4EEvPT_PT0_
; %bb.0:
	s_load_b128 s[0:3], s[0:1], 0x0
	s_mov_b32 s5, 0
	s_lshl_b32 s4, s15, 9
	v_lshlrev_b32_e32 v3, 3, v0
	s_lshl_b64 s[4:5], s[4:5], 1
	v_lshlrev_b32_e32 v4, 2, v0
	v_mbcnt_lo_u32_b32 v5, -1, 0
	s_delay_alu instid0(VALU_DEP_2) | instskip(NEXT) | instid1(VALU_DEP_2)
	v_and_b32_e32 v4, 0x780, v4
	v_and_or_b32 v0, 0x1e0, v0, v5
	s_delay_alu instid0(VALU_DEP_2) | instskip(NEXT) | instid1(VALU_DEP_2)
	v_or_b32_e32 v5, v5, v4
	v_lshrrev_b32_e32 v6, 3, v0
	v_lshlrev_b32_e32 v0, 2, v0
	v_lshrrev_b32_e32 v4, 5, v4
	s_delay_alu instid0(VALU_DEP_4)
	v_or_b32_e32 v7, 64, v5
	s_waitcnt lgkmcnt(0)
	s_add_u32 s0, s0, s4
	s_addc_u32 s1, s1, s5
	v_and_b32_e32 v6, 62, v6
	global_load_b64 v[1:2], v3, s[0:1]
	v_lshrrev_b32_e32 v8, 5, v7
	v_add_lshl_u32 v4, v4, v5, 1
	v_or_b32_e32 v5, 0x60, v5
	v_add_lshl_u32 v0, v6, v0, 1
	s_add_u32 s0, s2, s4
	v_add_lshl_u32 v6, v8, v7, 1
	s_addc_u32 s1, s3, s5
	s_waitcnt vmcnt(0)
	ds_store_b64 v0, v[1:2]
	; wave barrier
	ds_load_u16 v0, v4
	ds_load_u16 v1, v6
	v_lshrrev_b32_e32 v2, 5, v5
	s_delay_alu instid0(VALU_DEP_1) | instskip(NEXT) | instid1(VALU_DEP_1)
	v_and_b32_e32 v2, 62, v2
	v_add_lshl_u32 v2, v2, v5, 1
	s_waitcnt lgkmcnt(1)
	ds_load_u16_d16_hi v0, v4 offset:64
	s_waitcnt lgkmcnt(1)
	ds_load_u16_d16_hi v1, v2
	s_waitcnt lgkmcnt(0)
	global_store_b64 v3, v[0:1], s[0:1]
	s_nop 0
	s_sendmsg sendmsg(MSG_DEALLOC_VGPRS)
	s_endpgm
	.section	.rodata,"a",@progbits
	.p2align	6, 0x0
	.amdhsa_kernel _Z30blocked_to_warp_striped_kernelI6__halfS0_Lj512ELj4EEvPT_PT0_
		.amdhsa_group_segment_fixed_size 1056
		.amdhsa_private_segment_fixed_size 0
		.amdhsa_kernarg_size 16
		.amdhsa_user_sgpr_count 15
		.amdhsa_user_sgpr_dispatch_ptr 0
		.amdhsa_user_sgpr_queue_ptr 0
		.amdhsa_user_sgpr_kernarg_segment_ptr 1
		.amdhsa_user_sgpr_dispatch_id 0
		.amdhsa_user_sgpr_private_segment_size 0
		.amdhsa_wavefront_size32 1
		.amdhsa_uses_dynamic_stack 0
		.amdhsa_enable_private_segment 0
		.amdhsa_system_sgpr_workgroup_id_x 1
		.amdhsa_system_sgpr_workgroup_id_y 0
		.amdhsa_system_sgpr_workgroup_id_z 0
		.amdhsa_system_sgpr_workgroup_info 0
		.amdhsa_system_vgpr_workitem_id 0
		.amdhsa_next_free_vgpr 9
		.amdhsa_next_free_sgpr 16
		.amdhsa_reserve_vcc 0
		.amdhsa_float_round_mode_32 0
		.amdhsa_float_round_mode_16_64 0
		.amdhsa_float_denorm_mode_32 3
		.amdhsa_float_denorm_mode_16_64 3
		.amdhsa_dx10_clamp 1
		.amdhsa_ieee_mode 1
		.amdhsa_fp16_overflow 0
		.amdhsa_workgroup_processor_mode 1
		.amdhsa_memory_ordered 1
		.amdhsa_forward_progress 0
		.amdhsa_shared_vgpr_count 0
		.amdhsa_exception_fp_ieee_invalid_op 0
		.amdhsa_exception_fp_denorm_src 0
		.amdhsa_exception_fp_ieee_div_zero 0
		.amdhsa_exception_fp_ieee_overflow 0
		.amdhsa_exception_fp_ieee_underflow 0
		.amdhsa_exception_fp_ieee_inexact 0
		.amdhsa_exception_int_div_zero 0
	.end_amdhsa_kernel
	.section	.text._Z30blocked_to_warp_striped_kernelI6__halfS0_Lj512ELj4EEvPT_PT0_,"axG",@progbits,_Z30blocked_to_warp_striped_kernelI6__halfS0_Lj512ELj4EEvPT_PT0_,comdat
.Lfunc_end53:
	.size	_Z30blocked_to_warp_striped_kernelI6__halfS0_Lj512ELj4EEvPT_PT0_, .Lfunc_end53-_Z30blocked_to_warp_striped_kernelI6__halfS0_Lj512ELj4EEvPT_PT0_
                                        ; -- End function
	.section	.AMDGPU.csdata,"",@progbits
; Kernel info:
; codeLenInByte = 252
; NumSgprs: 16
; NumVgprs: 9
; ScratchSize: 0
; MemoryBound: 0
; FloatMode: 240
; IeeeMode: 1
; LDSByteSize: 1056 bytes/workgroup (compile time only)
; SGPRBlocks: 1
; VGPRBlocks: 1
; NumSGPRsForWavesPerEU: 16
; NumVGPRsForWavesPerEU: 9
; Occupancy: 16
; WaveLimiterHint : 0
; COMPUTE_PGM_RSRC2:SCRATCH_EN: 0
; COMPUTE_PGM_RSRC2:USER_SGPR: 15
; COMPUTE_PGM_RSRC2:TRAP_HANDLER: 0
; COMPUTE_PGM_RSRC2:TGID_X_EN: 1
; COMPUTE_PGM_RSRC2:TGID_Y_EN: 0
; COMPUTE_PGM_RSRC2:TGID_Z_EN: 0
; COMPUTE_PGM_RSRC2:TIDIG_COMP_CNT: 0
	.section	.text._Z30blocked_to_warp_striped_kernelI12hip_bfloat16S0_Lj512ELj4EEvPT_PT0_,"axG",@progbits,_Z30blocked_to_warp_striped_kernelI12hip_bfloat16S0_Lj512ELj4EEvPT_PT0_,comdat
	.protected	_Z30blocked_to_warp_striped_kernelI12hip_bfloat16S0_Lj512ELj4EEvPT_PT0_ ; -- Begin function _Z30blocked_to_warp_striped_kernelI12hip_bfloat16S0_Lj512ELj4EEvPT_PT0_
	.globl	_Z30blocked_to_warp_striped_kernelI12hip_bfloat16S0_Lj512ELj4EEvPT_PT0_
	.p2align	8
	.type	_Z30blocked_to_warp_striped_kernelI12hip_bfloat16S0_Lj512ELj4EEvPT_PT0_,@function
_Z30blocked_to_warp_striped_kernelI12hip_bfloat16S0_Lj512ELj4EEvPT_PT0_: ; @_Z30blocked_to_warp_striped_kernelI12hip_bfloat16S0_Lj512ELj4EEvPT_PT0_
; %bb.0:
	s_load_b128 s[0:3], s[0:1], 0x0
	s_mov_b32 s5, 0
	s_lshl_b32 s4, s15, 9
	v_lshlrev_b32_e32 v3, 3, v0
	s_lshl_b64 s[4:5], s[4:5], 1
	v_lshlrev_b32_e32 v4, 2, v0
	v_mbcnt_lo_u32_b32 v5, -1, 0
	s_delay_alu instid0(VALU_DEP_2) | instskip(NEXT) | instid1(VALU_DEP_2)
	v_and_b32_e32 v4, 0x780, v4
	v_and_or_b32 v0, 0x1e0, v0, v5
	s_delay_alu instid0(VALU_DEP_2) | instskip(NEXT) | instid1(VALU_DEP_2)
	v_or_b32_e32 v5, v5, v4
	v_lshrrev_b32_e32 v6, 3, v0
	v_lshlrev_b32_e32 v0, 2, v0
	v_lshrrev_b32_e32 v4, 5, v4
	s_delay_alu instid0(VALU_DEP_4)
	v_or_b32_e32 v7, 64, v5
	s_waitcnt lgkmcnt(0)
	s_add_u32 s0, s0, s4
	s_addc_u32 s1, s1, s5
	v_and_b32_e32 v6, 62, v6
	global_load_b64 v[1:2], v3, s[0:1]
	v_lshrrev_b32_e32 v8, 5, v7
	v_add_lshl_u32 v4, v4, v5, 1
	v_or_b32_e32 v5, 0x60, v5
	v_add_lshl_u32 v0, v6, v0, 1
	s_add_u32 s0, s2, s4
	v_add_lshl_u32 v6, v8, v7, 1
	s_addc_u32 s1, s3, s5
	s_waitcnt vmcnt(0)
	ds_store_b64 v0, v[1:2]
	; wave barrier
	ds_load_u16 v0, v4
	ds_load_u16 v1, v6
	v_lshrrev_b32_e32 v2, 5, v5
	s_delay_alu instid0(VALU_DEP_1) | instskip(NEXT) | instid1(VALU_DEP_1)
	v_and_b32_e32 v2, 62, v2
	v_add_lshl_u32 v2, v2, v5, 1
	s_waitcnt lgkmcnt(1)
	ds_load_u16_d16_hi v0, v4 offset:64
	s_waitcnt lgkmcnt(1)
	ds_load_u16_d16_hi v1, v2
	s_waitcnt lgkmcnt(0)
	global_store_b64 v3, v[0:1], s[0:1]
	s_nop 0
	s_sendmsg sendmsg(MSG_DEALLOC_VGPRS)
	s_endpgm
	.section	.rodata,"a",@progbits
	.p2align	6, 0x0
	.amdhsa_kernel _Z30blocked_to_warp_striped_kernelI12hip_bfloat16S0_Lj512ELj4EEvPT_PT0_
		.amdhsa_group_segment_fixed_size 1056
		.amdhsa_private_segment_fixed_size 0
		.amdhsa_kernarg_size 16
		.amdhsa_user_sgpr_count 15
		.amdhsa_user_sgpr_dispatch_ptr 0
		.amdhsa_user_sgpr_queue_ptr 0
		.amdhsa_user_sgpr_kernarg_segment_ptr 1
		.amdhsa_user_sgpr_dispatch_id 0
		.amdhsa_user_sgpr_private_segment_size 0
		.amdhsa_wavefront_size32 1
		.amdhsa_uses_dynamic_stack 0
		.amdhsa_enable_private_segment 0
		.amdhsa_system_sgpr_workgroup_id_x 1
		.amdhsa_system_sgpr_workgroup_id_y 0
		.amdhsa_system_sgpr_workgroup_id_z 0
		.amdhsa_system_sgpr_workgroup_info 0
		.amdhsa_system_vgpr_workitem_id 0
		.amdhsa_next_free_vgpr 9
		.amdhsa_next_free_sgpr 16
		.amdhsa_reserve_vcc 0
		.amdhsa_float_round_mode_32 0
		.amdhsa_float_round_mode_16_64 0
		.amdhsa_float_denorm_mode_32 3
		.amdhsa_float_denorm_mode_16_64 3
		.amdhsa_dx10_clamp 1
		.amdhsa_ieee_mode 1
		.amdhsa_fp16_overflow 0
		.amdhsa_workgroup_processor_mode 1
		.amdhsa_memory_ordered 1
		.amdhsa_forward_progress 0
		.amdhsa_shared_vgpr_count 0
		.amdhsa_exception_fp_ieee_invalid_op 0
		.amdhsa_exception_fp_denorm_src 0
		.amdhsa_exception_fp_ieee_div_zero 0
		.amdhsa_exception_fp_ieee_overflow 0
		.amdhsa_exception_fp_ieee_underflow 0
		.amdhsa_exception_fp_ieee_inexact 0
		.amdhsa_exception_int_div_zero 0
	.end_amdhsa_kernel
	.section	.text._Z30blocked_to_warp_striped_kernelI12hip_bfloat16S0_Lj512ELj4EEvPT_PT0_,"axG",@progbits,_Z30blocked_to_warp_striped_kernelI12hip_bfloat16S0_Lj512ELj4EEvPT_PT0_,comdat
.Lfunc_end54:
	.size	_Z30blocked_to_warp_striped_kernelI12hip_bfloat16S0_Lj512ELj4EEvPT_PT0_, .Lfunc_end54-_Z30blocked_to_warp_striped_kernelI12hip_bfloat16S0_Lj512ELj4EEvPT_PT0_
                                        ; -- End function
	.section	.AMDGPU.csdata,"",@progbits
; Kernel info:
; codeLenInByte = 252
; NumSgprs: 16
; NumVgprs: 9
; ScratchSize: 0
; MemoryBound: 0
; FloatMode: 240
; IeeeMode: 1
; LDSByteSize: 1056 bytes/workgroup (compile time only)
; SGPRBlocks: 1
; VGPRBlocks: 1
; NumSGPRsForWavesPerEU: 16
; NumVGPRsForWavesPerEU: 9
; Occupancy: 16
; WaveLimiterHint : 0
; COMPUTE_PGM_RSRC2:SCRATCH_EN: 0
; COMPUTE_PGM_RSRC2:USER_SGPR: 15
; COMPUTE_PGM_RSRC2:TRAP_HANDLER: 0
; COMPUTE_PGM_RSRC2:TGID_X_EN: 1
; COMPUTE_PGM_RSRC2:TGID_Y_EN: 0
; COMPUTE_PGM_RSRC2:TGID_Z_EN: 0
; COMPUTE_PGM_RSRC2:TIDIG_COMP_CNT: 0
	.section	.text._Z30blocked_to_warp_striped_kernelIfdLj512ELj4EEvPT_PT0_,"axG",@progbits,_Z30blocked_to_warp_striped_kernelIfdLj512ELj4EEvPT_PT0_,comdat
	.protected	_Z30blocked_to_warp_striped_kernelIfdLj512ELj4EEvPT_PT0_ ; -- Begin function _Z30blocked_to_warp_striped_kernelIfdLj512ELj4EEvPT_PT0_
	.globl	_Z30blocked_to_warp_striped_kernelIfdLj512ELj4EEvPT_PT0_
	.p2align	8
	.type	_Z30blocked_to_warp_striped_kernelIfdLj512ELj4EEvPT_PT0_,@function
_Z30blocked_to_warp_striped_kernelIfdLj512ELj4EEvPT_PT0_: ; @_Z30blocked_to_warp_striped_kernelIfdLj512ELj4EEvPT_PT0_
; %bb.0:
	s_load_b128 s[0:3], s[0:1], 0x0
	s_mov_b32 s5, 0
	s_lshl_b32 s4, s15, 9
	v_lshlrev_b32_e32 v1, 4, v0
	s_lshl_b64 s[6:7], s[4:5], 2
	v_lshlrev_b32_e32 v5, 2, v0
	v_mbcnt_lo_u32_b32 v6, -1, 0
	s_delay_alu instid0(VALU_DEP_2) | instskip(NEXT) | instid1(VALU_DEP_2)
	v_and_b32_e32 v5, 0x780, v5
	v_and_or_b32 v7, 0x1e0, v0, v6
	v_lshlrev_b32_e32 v0, 5, v0
	s_delay_alu instid0(VALU_DEP_3) | instskip(NEXT) | instid1(VALU_DEP_3)
	v_or_b32_e32 v6, v6, v5
	v_lshlrev_b32_e32 v8, 2, v7
	v_bfe_u32 v7, v7, 3, 27
	v_lshrrev_b32_e32 v5, 5, v5
	s_delay_alu instid0(VALU_DEP_4)
	v_or_b32_e32 v9, 32, v6
	s_waitcnt lgkmcnt(0)
	s_add_u32 s0, s0, s6
	s_addc_u32 s1, s1, s7
	v_or_b32_e32 v10, 64, v6
	global_load_b128 v[1:4], v1, s[0:1]
	v_or_b32_e32 v11, 0x60, v6
	v_lshrrev_b32_e32 v12, 5, v9
	v_add_lshl_u32 v7, v7, v8, 2
	v_lshrrev_b32_e32 v13, 5, v10
	v_add_lshl_u32 v5, v5, v6, 2
	;; [unrolled: 2-line block ×3, first 2 shown]
	s_lshl_b64 s[0:1], s[4:5], 3
	v_add_lshl_u32 v8, v13, v10, 2
	s_add_u32 s0, s2, s0
	v_add_lshl_u32 v9, v14, v11, 2
	s_addc_u32 s1, s3, s1
	s_waitcnt vmcnt(0)
	ds_store_2addr_b32 v7, v1, v2 offset1:1
	ds_store_2addr_b32 v7, v3, v4 offset0:2 offset1:3
	; wave barrier
	ds_load_b32 v1, v5
	ds_load_b32 v3, v6
	;; [unrolled: 1-line block ×4, first 2 shown]
	s_waitcnt lgkmcnt(3)
	v_cvt_f64_f32_e32 v[1:2], v1
	s_waitcnt lgkmcnt(2)
	v_cvt_f64_f32_e32 v[3:4], v3
	;; [unrolled: 2-line block ×4, first 2 shown]
	s_clause 0x1
	global_store_b128 v0, v[1:4], s[0:1]
	global_store_b128 v0, v[5:8], s[0:1] offset:16
	s_nop 0
	s_sendmsg sendmsg(MSG_DEALLOC_VGPRS)
	s_endpgm
	.section	.rodata,"a",@progbits
	.p2align	6, 0x0
	.amdhsa_kernel _Z30blocked_to_warp_striped_kernelIfdLj512ELj4EEvPT_PT0_
		.amdhsa_group_segment_fixed_size 2112
		.amdhsa_private_segment_fixed_size 0
		.amdhsa_kernarg_size 16
		.amdhsa_user_sgpr_count 15
		.amdhsa_user_sgpr_dispatch_ptr 0
		.amdhsa_user_sgpr_queue_ptr 0
		.amdhsa_user_sgpr_kernarg_segment_ptr 1
		.amdhsa_user_sgpr_dispatch_id 0
		.amdhsa_user_sgpr_private_segment_size 0
		.amdhsa_wavefront_size32 1
		.amdhsa_uses_dynamic_stack 0
		.amdhsa_enable_private_segment 0
		.amdhsa_system_sgpr_workgroup_id_x 1
		.amdhsa_system_sgpr_workgroup_id_y 0
		.amdhsa_system_sgpr_workgroup_id_z 0
		.amdhsa_system_sgpr_workgroup_info 0
		.amdhsa_system_vgpr_workitem_id 0
		.amdhsa_next_free_vgpr 15
		.amdhsa_next_free_sgpr 16
		.amdhsa_reserve_vcc 0
		.amdhsa_float_round_mode_32 0
		.amdhsa_float_round_mode_16_64 0
		.amdhsa_float_denorm_mode_32 3
		.amdhsa_float_denorm_mode_16_64 3
		.amdhsa_dx10_clamp 1
		.amdhsa_ieee_mode 1
		.amdhsa_fp16_overflow 0
		.amdhsa_workgroup_processor_mode 1
		.amdhsa_memory_ordered 1
		.amdhsa_forward_progress 0
		.amdhsa_shared_vgpr_count 0
		.amdhsa_exception_fp_ieee_invalid_op 0
		.amdhsa_exception_fp_denorm_src 0
		.amdhsa_exception_fp_ieee_div_zero 0
		.amdhsa_exception_fp_ieee_overflow 0
		.amdhsa_exception_fp_ieee_underflow 0
		.amdhsa_exception_fp_ieee_inexact 0
		.amdhsa_exception_int_div_zero 0
	.end_amdhsa_kernel
	.section	.text._Z30blocked_to_warp_striped_kernelIfdLj512ELj4EEvPT_PT0_,"axG",@progbits,_Z30blocked_to_warp_striped_kernelIfdLj512ELj4EEvPT_PT0_,comdat
.Lfunc_end55:
	.size	_Z30blocked_to_warp_striped_kernelIfdLj512ELj4EEvPT_PT0_, .Lfunc_end55-_Z30blocked_to_warp_striped_kernelIfdLj512ELj4EEvPT_PT0_
                                        ; -- End function
	.section	.AMDGPU.csdata,"",@progbits
; Kernel info:
; codeLenInByte = 308
; NumSgprs: 16
; NumVgprs: 15
; ScratchSize: 0
; MemoryBound: 0
; FloatMode: 240
; IeeeMode: 1
; LDSByteSize: 2112 bytes/workgroup (compile time only)
; SGPRBlocks: 1
; VGPRBlocks: 1
; NumSGPRsForWavesPerEU: 16
; NumVGPRsForWavesPerEU: 15
; Occupancy: 16
; WaveLimiterHint : 0
; COMPUTE_PGM_RSRC2:SCRATCH_EN: 0
; COMPUTE_PGM_RSRC2:USER_SGPR: 15
; COMPUTE_PGM_RSRC2:TRAP_HANDLER: 0
; COMPUTE_PGM_RSRC2:TGID_X_EN: 1
; COMPUTE_PGM_RSRC2:TGID_Y_EN: 0
; COMPUTE_PGM_RSRC2:TGID_Z_EN: 0
; COMPUTE_PGM_RSRC2:TIDIG_COMP_CNT: 0
	.section	.text._Z30blocked_to_warp_striped_kernelIiiLj512ELj4EEvPT_PT0_,"axG",@progbits,_Z30blocked_to_warp_striped_kernelIiiLj512ELj4EEvPT_PT0_,comdat
	.protected	_Z30blocked_to_warp_striped_kernelIiiLj512ELj4EEvPT_PT0_ ; -- Begin function _Z30blocked_to_warp_striped_kernelIiiLj512ELj4EEvPT_PT0_
	.globl	_Z30blocked_to_warp_striped_kernelIiiLj512ELj4EEvPT_PT0_
	.p2align	8
	.type	_Z30blocked_to_warp_striped_kernelIiiLj512ELj4EEvPT_PT0_,@function
_Z30blocked_to_warp_striped_kernelIiiLj512ELj4EEvPT_PT0_: ; @_Z30blocked_to_warp_striped_kernelIiiLj512ELj4EEvPT_PT0_
; %bb.0:
	s_load_b128 s[0:3], s[0:1], 0x0
	s_mov_b32 s5, 0
	s_lshl_b32 s4, s15, 9
	v_lshlrev_b32_e32 v5, 4, v0
	s_lshl_b64 s[4:5], s[4:5], 2
	v_lshlrev_b32_e32 v6, 2, v0
	v_mbcnt_lo_u32_b32 v7, -1, 0
	s_delay_alu instid0(VALU_DEP_2) | instskip(NEXT) | instid1(VALU_DEP_2)
	v_and_b32_e32 v6, 0x780, v6
	v_and_or_b32 v0, 0x1e0, v0, v7
	s_delay_alu instid0(VALU_DEP_2) | instskip(NEXT) | instid1(VALU_DEP_2)
	v_or_b32_e32 v7, v7, v6
	v_lshlrev_b32_e32 v8, 2, v0
	v_bfe_u32 v0, v0, 3, 27
	v_lshrrev_b32_e32 v6, 5, v6
	s_delay_alu instid0(VALU_DEP_4)
	v_or_b32_e32 v9, 32, v7
	s_waitcnt lgkmcnt(0)
	s_add_u32 s0, s0, s4
	s_addc_u32 s1, s1, s5
	v_or_b32_e32 v10, 64, v7
	global_load_b128 v[1:4], v5, s[0:1]
	v_or_b32_e32 v11, 0x60, v7
	v_lshrrev_b32_e32 v12, 5, v9
	v_add_lshl_u32 v0, v0, v8, 2
	v_lshrrev_b32_e32 v13, 5, v10
	v_add_lshl_u32 v6, v6, v7, 2
	v_lshrrev_b32_e32 v14, 5, v11
	v_add_lshl_u32 v7, v12, v9, 2
	s_add_u32 s0, s2, s4
	v_add_lshl_u32 v8, v13, v10, 2
	s_addc_u32 s1, s3, s5
	v_add_lshl_u32 v9, v14, v11, 2
	s_waitcnt vmcnt(0)
	ds_store_2addr_b32 v0, v1, v2 offset1:1
	ds_store_2addr_b32 v0, v3, v4 offset0:2 offset1:3
	; wave barrier
	ds_load_b32 v0, v6
	ds_load_b32 v1, v7
	;; [unrolled: 1-line block ×4, first 2 shown]
	s_waitcnt lgkmcnt(0)
	global_store_b128 v5, v[0:3], s[0:1]
	s_nop 0
	s_sendmsg sendmsg(MSG_DEALLOC_VGPRS)
	s_endpgm
	.section	.rodata,"a",@progbits
	.p2align	6, 0x0
	.amdhsa_kernel _Z30blocked_to_warp_striped_kernelIiiLj512ELj4EEvPT_PT0_
		.amdhsa_group_segment_fixed_size 2112
		.amdhsa_private_segment_fixed_size 0
		.amdhsa_kernarg_size 16
		.amdhsa_user_sgpr_count 15
		.amdhsa_user_sgpr_dispatch_ptr 0
		.amdhsa_user_sgpr_queue_ptr 0
		.amdhsa_user_sgpr_kernarg_segment_ptr 1
		.amdhsa_user_sgpr_dispatch_id 0
		.amdhsa_user_sgpr_private_segment_size 0
		.amdhsa_wavefront_size32 1
		.amdhsa_uses_dynamic_stack 0
		.amdhsa_enable_private_segment 0
		.amdhsa_system_sgpr_workgroup_id_x 1
		.amdhsa_system_sgpr_workgroup_id_y 0
		.amdhsa_system_sgpr_workgroup_id_z 0
		.amdhsa_system_sgpr_workgroup_info 0
		.amdhsa_system_vgpr_workitem_id 0
		.amdhsa_next_free_vgpr 15
		.amdhsa_next_free_sgpr 16
		.amdhsa_reserve_vcc 0
		.amdhsa_float_round_mode_32 0
		.amdhsa_float_round_mode_16_64 0
		.amdhsa_float_denorm_mode_32 3
		.amdhsa_float_denorm_mode_16_64 3
		.amdhsa_dx10_clamp 1
		.amdhsa_ieee_mode 1
		.amdhsa_fp16_overflow 0
		.amdhsa_workgroup_processor_mode 1
		.amdhsa_memory_ordered 1
		.amdhsa_forward_progress 0
		.amdhsa_shared_vgpr_count 0
		.amdhsa_exception_fp_ieee_invalid_op 0
		.amdhsa_exception_fp_denorm_src 0
		.amdhsa_exception_fp_ieee_div_zero 0
		.amdhsa_exception_fp_ieee_overflow 0
		.amdhsa_exception_fp_ieee_underflow 0
		.amdhsa_exception_fp_ieee_inexact 0
		.amdhsa_exception_int_div_zero 0
	.end_amdhsa_kernel
	.section	.text._Z30blocked_to_warp_striped_kernelIiiLj512ELj4EEvPT_PT0_,"axG",@progbits,_Z30blocked_to_warp_striped_kernelIiiLj512ELj4EEvPT_PT0_,comdat
.Lfunc_end56:
	.size	_Z30blocked_to_warp_striped_kernelIiiLj512ELj4EEvPT_PT0_, .Lfunc_end56-_Z30blocked_to_warp_striped_kernelIiiLj512ELj4EEvPT_PT0_
                                        ; -- End function
	.section	.AMDGPU.csdata,"",@progbits
; Kernel info:
; codeLenInByte = 260
; NumSgprs: 16
; NumVgprs: 15
; ScratchSize: 0
; MemoryBound: 0
; FloatMode: 240
; IeeeMode: 1
; LDSByteSize: 2112 bytes/workgroup (compile time only)
; SGPRBlocks: 1
; VGPRBlocks: 1
; NumSGPRsForWavesPerEU: 16
; NumVGPRsForWavesPerEU: 15
; Occupancy: 16
; WaveLimiterHint : 0
; COMPUTE_PGM_RSRC2:SCRATCH_EN: 0
; COMPUTE_PGM_RSRC2:USER_SGPR: 15
; COMPUTE_PGM_RSRC2:TRAP_HANDLER: 0
; COMPUTE_PGM_RSRC2:TGID_X_EN: 1
; COMPUTE_PGM_RSRC2:TGID_Y_EN: 0
; COMPUTE_PGM_RSRC2:TGID_Z_EN: 0
; COMPUTE_PGM_RSRC2:TIDIG_COMP_CNT: 0
	.section	.text._Z30warp_striped_to_blocked_kernelIsiLj2106ELj9EEvPT_PT0_,"axG",@progbits,_Z30warp_striped_to_blocked_kernelIsiLj2106ELj9EEvPT_PT0_,comdat
	.protected	_Z30warp_striped_to_blocked_kernelIsiLj2106ELj9EEvPT_PT0_ ; -- Begin function _Z30warp_striped_to_blocked_kernelIsiLj2106ELj9EEvPT_PT0_
	.globl	_Z30warp_striped_to_blocked_kernelIsiLj2106ELj9EEvPT_PT0_
	.p2align	8
	.type	_Z30warp_striped_to_blocked_kernelIsiLj2106ELj9EEvPT_PT0_,@function
_Z30warp_striped_to_blocked_kernelIsiLj2106ELj9EEvPT_PT0_: ; @_Z30warp_striped_to_blocked_kernelIsiLj2106ELj9EEvPT_PT0_
; %bb.0:
	s_load_b128 s[0:3], s[0:1], 0x0
	v_mul_u32_u24_e32 v5, 9, v0
	s_mov_b32 s5, 0
	s_mul_i32 s4, s15, 0x83a
	v_lshrrev_b32_e32 v7, 5, v0
	s_lshl_b64 s[6:7], s[4:5], 1
	v_lshlrev_b32_e32 v6, 1, v5
	v_mbcnt_lo_u32_b32 v8, -1, 0
	v_and_b32_e32 v0, 0x1e0, v0
	v_mul_u32_u24_e32 v7, 0x120, v7
	s_delay_alu instid0(VALU_DEP_2) | instskip(NEXT) | instid1(VALU_DEP_2)
	v_cmp_eq_u32_e32 vcc_lo, 0xe0, v0
	v_or_b32_e32 v7, v8, v7
	v_cndmask_b32_e64 v0, 64, 20, vcc_lo
	s_delay_alu instid0(VALU_DEP_2)
	v_lshlrev_b32_e32 v7, 1, v7
	s_waitcnt lgkmcnt(0)
	s_add_u32 s0, s0, s6
	s_addc_u32 s1, s1, s7
	s_clause 0x1
	global_load_b128 v[1:4], v6, s[0:1]
	global_load_u16 v6, v6, s[0:1] offset:16
	v_add_nc_u32_e32 v9, v7, v0
	v_lshl_add_u32 v8, v8, 4, v7
	s_lshl_b64 s[0:1], s[4:5], 2
	s_delay_alu instid0(SALU_CYCLE_1) | instskip(NEXT) | instid1(VALU_DEP_2)
	s_add_u32 s0, s2, s0
	v_add_nc_u32_e32 v10, v9, v0
	s_addc_u32 s1, s3, s1
	s_delay_alu instid0(VALU_DEP_1) | instskip(NEXT) | instid1(VALU_DEP_1)
	v_add_nc_u32_e32 v11, v10, v0
	v_add_nc_u32_e32 v12, v11, v0
	s_delay_alu instid0(VALU_DEP_1) | instskip(NEXT) | instid1(VALU_DEP_1)
	v_add_nc_u32_e32 v13, v12, v0
	v_add_nc_u32_e32 v14, v13, v0
	;; [unrolled: 3-line block ×3, first 2 shown]
	s_waitcnt vmcnt(1)
	ds_store_b16 v7, v1
	ds_store_b16_d16_hi v9, v1
	ds_store_b16 v10, v2
	ds_store_b16_d16_hi v11, v2
	;; [unrolled: 2-line block ×4, first 2 shown]
	s_waitcnt vmcnt(0)
	ds_store_b16 v0, v6
	; wave barrier
	ds_load_b128 v[0:3], v8
	ds_load_i16 v8, v8 offset:16
	v_lshlrev_b32_e32 v9, 2, v5
	s_waitcnt lgkmcnt(1)
	v_bfe_i32 v4, v0, 0, 16
	v_ashrrev_i32_e32 v5, 16, v0
	v_bfe_i32 v6, v1, 0, 16
	v_ashrrev_i32_e32 v7, 16, v1
	;; [unrolled: 2-line block ×4, first 2 shown]
	s_clause 0x1
	global_store_b128 v9, v[4:7], s[0:1]
	global_store_b128 v9, v[0:3], s[0:1] offset:16
	s_waitcnt lgkmcnt(0)
	global_store_b32 v9, v8, s[0:1] offset:32
	s_nop 0
	s_sendmsg sendmsg(MSG_DEALLOC_VGPRS)
	s_endpgm
	.section	.rodata,"a",@progbits
	.p2align	6, 0x0
	.amdhsa_kernel _Z30warp_striped_to_blocked_kernelIsiLj2106ELj9EEvPT_PT0_
		.amdhsa_group_segment_fixed_size 4224
		.amdhsa_private_segment_fixed_size 0
		.amdhsa_kernarg_size 16
		.amdhsa_user_sgpr_count 15
		.amdhsa_user_sgpr_dispatch_ptr 0
		.amdhsa_user_sgpr_queue_ptr 0
		.amdhsa_user_sgpr_kernarg_segment_ptr 1
		.amdhsa_user_sgpr_dispatch_id 0
		.amdhsa_user_sgpr_private_segment_size 0
		.amdhsa_wavefront_size32 1
		.amdhsa_uses_dynamic_stack 0
		.amdhsa_enable_private_segment 0
		.amdhsa_system_sgpr_workgroup_id_x 1
		.amdhsa_system_sgpr_workgroup_id_y 0
		.amdhsa_system_sgpr_workgroup_id_z 0
		.amdhsa_system_sgpr_workgroup_info 0
		.amdhsa_system_vgpr_workitem_id 0
		.amdhsa_next_free_vgpr 16
		.amdhsa_next_free_sgpr 16
		.amdhsa_reserve_vcc 1
		.amdhsa_float_round_mode_32 0
		.amdhsa_float_round_mode_16_64 0
		.amdhsa_float_denorm_mode_32 3
		.amdhsa_float_denorm_mode_16_64 3
		.amdhsa_dx10_clamp 1
		.amdhsa_ieee_mode 1
		.amdhsa_fp16_overflow 0
		.amdhsa_workgroup_processor_mode 1
		.amdhsa_memory_ordered 1
		.amdhsa_forward_progress 0
		.amdhsa_shared_vgpr_count 0
		.amdhsa_exception_fp_ieee_invalid_op 0
		.amdhsa_exception_fp_denorm_src 0
		.amdhsa_exception_fp_ieee_div_zero 0
		.amdhsa_exception_fp_ieee_overflow 0
		.amdhsa_exception_fp_ieee_underflow 0
		.amdhsa_exception_fp_ieee_inexact 0
		.amdhsa_exception_int_div_zero 0
	.end_amdhsa_kernel
	.section	.text._Z30warp_striped_to_blocked_kernelIsiLj2106ELj9EEvPT_PT0_,"axG",@progbits,_Z30warp_striped_to_blocked_kernelIsiLj2106ELj9EEvPT_PT0_,comdat
.Lfunc_end57:
	.size	_Z30warp_striped_to_blocked_kernelIsiLj2106ELj9EEvPT_PT0_, .Lfunc_end57-_Z30warp_striped_to_blocked_kernelIsiLj2106ELj9EEvPT_PT0_
                                        ; -- End function
	.section	.AMDGPU.csdata,"",@progbits
; Kernel info:
; codeLenInByte = 388
; NumSgprs: 18
; NumVgprs: 16
; ScratchSize: 0
; MemoryBound: 0
; FloatMode: 240
; IeeeMode: 1
; LDSByteSize: 4224 bytes/workgroup (compile time only)
; SGPRBlocks: 2
; VGPRBlocks: 1
; NumSGPRsForWavesPerEU: 18
; NumVGPRsForWavesPerEU: 16
; Occupancy: 16
; WaveLimiterHint : 0
; COMPUTE_PGM_RSRC2:SCRATCH_EN: 0
; COMPUTE_PGM_RSRC2:USER_SGPR: 15
; COMPUTE_PGM_RSRC2:TRAP_HANDLER: 0
; COMPUTE_PGM_RSRC2:TGID_X_EN: 1
; COMPUTE_PGM_RSRC2:TGID_Y_EN: 0
; COMPUTE_PGM_RSRC2:TGID_Z_EN: 0
; COMPUTE_PGM_RSRC2:TIDIG_COMP_CNT: 0
	.section	.text._Z30warp_striped_to_blocked_kernelItjLj300ELj3EEvPT_PT0_,"axG",@progbits,_Z30warp_striped_to_blocked_kernelItjLj300ELj3EEvPT_PT0_,comdat
	.protected	_Z30warp_striped_to_blocked_kernelItjLj300ELj3EEvPT_PT0_ ; -- Begin function _Z30warp_striped_to_blocked_kernelItjLj300ELj3EEvPT_PT0_
	.globl	_Z30warp_striped_to_blocked_kernelItjLj300ELj3EEvPT_PT0_
	.p2align	8
	.type	_Z30warp_striped_to_blocked_kernelItjLj300ELj3EEvPT_PT0_,@function
_Z30warp_striped_to_blocked_kernelItjLj300ELj3EEvPT_PT0_: ; @_Z30warp_striped_to_blocked_kernelItjLj300ELj3EEvPT_PT0_
; %bb.0:
	s_load_b128 s[0:3], s[0:1], 0x0
	v_mul_u32_u24_e32 v3, 3, v0
	s_mov_b32 s5, 0
	s_mul_i32 s4, s15, 0x12c
	v_lshrrev_b32_e32 v4, 5, v0
	s_lshl_b64 s[6:7], s[4:5], 1
	v_lshlrev_b32_e32 v1, 1, v3
	v_and_b32_e32 v0, 0x1e0, v0
	v_mbcnt_lo_u32_b32 v5, -1, 0
	v_mul_u32_u24_e32 v4, 0x60, v4
	v_lshlrev_b32_e32 v3, 2, v3
	s_delay_alu instid0(VALU_DEP_4) | instskip(NEXT) | instid1(VALU_DEP_3)
	v_cmp_eq_u32_e32 vcc_lo, 0x60, v0
	v_or_b32_e32 v4, v5, v4
	v_cndmask_b32_e64 v0, 5, 2, vcc_lo
	s_delay_alu instid0(VALU_DEP_2)
	v_lshlrev_b32_e32 v4, 1, v4
	s_waitcnt lgkmcnt(0)
	s_add_u32 s0, s0, s6
	s_addc_u32 s1, s1, s7
	v_lshlrev_b32_e64 v6, v0, 1
	s_clause 0x1
	global_load_b32 v2, v1, s[0:1]
	global_load_u16 v1, v1, s[0:1] offset:4
	v_lshlrev_b32_e64 v0, v0, 2
	v_lshl_add_u32 v5, v5, 2, v4
	s_lshl_b64 s[0:1], s[4:5], 2
	v_lshl_add_u32 v6, v6, 1, v4
	s_add_u32 s0, s2, s0
	v_lshl_add_u32 v0, v0, 1, v4
	s_addc_u32 s1, s3, s1
	s_waitcnt vmcnt(1)
	ds_store_b16 v4, v2
	ds_store_b16_d16_hi v6, v2
	s_waitcnt vmcnt(0)
	ds_store_b16 v0, v1
	; wave barrier
	ds_load_u16 v0, v5
	ds_load_u16 v1, v5 offset:2
	ds_load_u16 v2, v5 offset:4
	s_waitcnt lgkmcnt(0)
	global_store_b96 v3, v[0:2], s[0:1]
	s_nop 0
	s_sendmsg sendmsg(MSG_DEALLOC_VGPRS)
	s_endpgm
	.section	.rodata,"a",@progbits
	.p2align	6, 0x0
	.amdhsa_kernel _Z30warp_striped_to_blocked_kernelItjLj300ELj3EEvPT_PT0_
		.amdhsa_group_segment_fixed_size 608
		.amdhsa_private_segment_fixed_size 0
		.amdhsa_kernarg_size 16
		.amdhsa_user_sgpr_count 15
		.amdhsa_user_sgpr_dispatch_ptr 0
		.amdhsa_user_sgpr_queue_ptr 0
		.amdhsa_user_sgpr_kernarg_segment_ptr 1
		.amdhsa_user_sgpr_dispatch_id 0
		.amdhsa_user_sgpr_private_segment_size 0
		.amdhsa_wavefront_size32 1
		.amdhsa_uses_dynamic_stack 0
		.amdhsa_enable_private_segment 0
		.amdhsa_system_sgpr_workgroup_id_x 1
		.amdhsa_system_sgpr_workgroup_id_y 0
		.amdhsa_system_sgpr_workgroup_id_z 0
		.amdhsa_system_sgpr_workgroup_info 0
		.amdhsa_system_vgpr_workitem_id 0
		.amdhsa_next_free_vgpr 7
		.amdhsa_next_free_sgpr 16
		.amdhsa_reserve_vcc 1
		.amdhsa_float_round_mode_32 0
		.amdhsa_float_round_mode_16_64 0
		.amdhsa_float_denorm_mode_32 3
		.amdhsa_float_denorm_mode_16_64 3
		.amdhsa_dx10_clamp 1
		.amdhsa_ieee_mode 1
		.amdhsa_fp16_overflow 0
		.amdhsa_workgroup_processor_mode 1
		.amdhsa_memory_ordered 1
		.amdhsa_forward_progress 0
		.amdhsa_shared_vgpr_count 0
		.amdhsa_exception_fp_ieee_invalid_op 0
		.amdhsa_exception_fp_denorm_src 0
		.amdhsa_exception_fp_ieee_div_zero 0
		.amdhsa_exception_fp_ieee_overflow 0
		.amdhsa_exception_fp_ieee_underflow 0
		.amdhsa_exception_fp_ieee_inexact 0
		.amdhsa_exception_int_div_zero 0
	.end_amdhsa_kernel
	.section	.text._Z30warp_striped_to_blocked_kernelItjLj300ELj3EEvPT_PT0_,"axG",@progbits,_Z30warp_striped_to_blocked_kernelItjLj300ELj3EEvPT_PT0_,comdat
.Lfunc_end58:
	.size	_Z30warp_striped_to_blocked_kernelItjLj300ELj3EEvPT_PT0_, .Lfunc_end58-_Z30warp_striped_to_blocked_kernelItjLj300ELj3EEvPT_PT0_
                                        ; -- End function
	.section	.AMDGPU.csdata,"",@progbits
; Kernel info:
; codeLenInByte = 260
; NumSgprs: 18
; NumVgprs: 7
; ScratchSize: 0
; MemoryBound: 0
; FloatMode: 240
; IeeeMode: 1
; LDSByteSize: 608 bytes/workgroup (compile time only)
; SGPRBlocks: 2
; VGPRBlocks: 0
; NumSGPRsForWavesPerEU: 18
; NumVGPRsForWavesPerEU: 7
; Occupancy: 16
; WaveLimiterHint : 0
; COMPUTE_PGM_RSRC2:SCRATCH_EN: 0
; COMPUTE_PGM_RSRC2:USER_SGPR: 15
; COMPUTE_PGM_RSRC2:TRAP_HANDLER: 0
; COMPUTE_PGM_RSRC2:TGID_X_EN: 1
; COMPUTE_PGM_RSRC2:TGID_Y_EN: 0
; COMPUTE_PGM_RSRC2:TGID_Z_EN: 0
; COMPUTE_PGM_RSRC2:TIDIG_COMP_CNT: 0
	.section	.text._Z30warp_striped_to_blocked_kernelIc5dummyIdELj928ELj2EEvPT_PT0_,"axG",@progbits,_Z30warp_striped_to_blocked_kernelIc5dummyIdELj928ELj2EEvPT_PT0_,comdat
	.protected	_Z30warp_striped_to_blocked_kernelIc5dummyIdELj928ELj2EEvPT_PT0_ ; -- Begin function _Z30warp_striped_to_blocked_kernelIc5dummyIdELj928ELj2EEvPT_PT0_
	.globl	_Z30warp_striped_to_blocked_kernelIc5dummyIdELj928ELj2EEvPT_PT0_
	.p2align	8
	.type	_Z30warp_striped_to_blocked_kernelIc5dummyIdELj928ELj2EEvPT_PT0_,@function
_Z30warp_striped_to_blocked_kernelIc5dummyIdELj928ELj2EEvPT_PT0_: ; @_Z30warp_striped_to_blocked_kernelIc5dummyIdELj928ELj2EEvPT_PT0_
; %bb.0:
	s_load_b128 s[0:3], s[0:1], 0x0
	s_mul_i32 s4, s15, 0x3a0
	v_lshlrev_b32_e32 v1, 1, v0
	v_and_b32_e32 v4, 0x1e0, v0
	v_mbcnt_lo_u32_b32 v3, -1, 0
	v_lshrrev_b32_e32 v6, 4, v0
	s_mov_b32 s5, 0
	v_lshlrev_b32_e32 v0, 5, v0
	v_cmp_eq_u32_e32 vcc_lo, 0x1c0, v4
	s_delay_alu instid0(VALU_DEP_3)
	v_and_b32_e32 v6, 28, v6
	v_cndmask_b32_e64 v5, 32, 16, vcc_lo
	s_waitcnt lgkmcnt(0)
	s_add_u32 s0, s0, s4
	s_addc_u32 s1, s1, 0
	global_load_u16 v2, v1, s[0:1]
	v_and_or_b32 v1, 0x3c0, v1, v3
	v_or_b32_e32 v3, v3, v4
	s_lshl_b64 s[0:1], s[4:5], 4
	s_delay_alu instid0(SALU_CYCLE_1) | instskip(NEXT) | instid1(VALU_DEP_2)
	s_add_u32 s0, s2, s0
	v_add_nc_u32_e32 v5, v1, v5
	v_add_nc_u32_e32 v1, v6, v1
	v_lshl_add_u32 v3, v3, 1, v6
	s_addc_u32 s1, s3, s1
	s_delay_alu instid0(VALU_DEP_3) | instskip(NEXT) | instid1(VALU_DEP_1)
	v_lshrrev_b32_e32 v7, 5, v5
	v_and_b32_e32 v7, 60, v7
	s_delay_alu instid0(VALU_DEP_1)
	v_add_nc_u32_e32 v4, v7, v5
	s_waitcnt vmcnt(0)
	v_lshrrev_b16 v5, 8, v2
	ds_store_b8 v1, v2
	ds_store_b8 v4, v5
	; wave barrier
	ds_load_i8 v1, v3
	ds_load_i8 v2, v3 offset:1
	s_waitcnt lgkmcnt(1)
	v_add_nc_u32_e32 v3, 1, v1
	v_lshlrev_b32_e32 v4, 1, v1
	s_waitcnt lgkmcnt(0)
	v_add_nc_u32_e32 v5, 1, v2
	v_lshlrev_b32_e32 v7, 1, v2
	v_cvt_f64_i32_e32 v[1:2], v3
	v_cvt_f64_i32_e32 v[3:4], v4
	s_delay_alu instid0(VALU_DEP_4) | instskip(NEXT) | instid1(VALU_DEP_4)
	v_cvt_f64_i32_e32 v[5:6], v5
	v_cvt_f64_i32_e32 v[7:8], v7
	s_clause 0x1
	global_store_b128 v0, v[1:4], s[0:1]
	global_store_b128 v0, v[5:8], s[0:1] offset:16
	s_nop 0
	s_sendmsg sendmsg(MSG_DEALLOC_VGPRS)
	s_endpgm
	.section	.rodata,"a",@progbits
	.p2align	6, 0x0
	.amdhsa_kernel _Z30warp_striped_to_blocked_kernelIc5dummyIdELj928ELj2EEvPT_PT0_
		.amdhsa_group_segment_fixed_size 960
		.amdhsa_private_segment_fixed_size 0
		.amdhsa_kernarg_size 16
		.amdhsa_user_sgpr_count 15
		.amdhsa_user_sgpr_dispatch_ptr 0
		.amdhsa_user_sgpr_queue_ptr 0
		.amdhsa_user_sgpr_kernarg_segment_ptr 1
		.amdhsa_user_sgpr_dispatch_id 0
		.amdhsa_user_sgpr_private_segment_size 0
		.amdhsa_wavefront_size32 1
		.amdhsa_uses_dynamic_stack 0
		.amdhsa_enable_private_segment 0
		.amdhsa_system_sgpr_workgroup_id_x 1
		.amdhsa_system_sgpr_workgroup_id_y 0
		.amdhsa_system_sgpr_workgroup_id_z 0
		.amdhsa_system_sgpr_workgroup_info 0
		.amdhsa_system_vgpr_workitem_id 0
		.amdhsa_next_free_vgpr 9
		.amdhsa_next_free_sgpr 16
		.amdhsa_reserve_vcc 1
		.amdhsa_float_round_mode_32 0
		.amdhsa_float_round_mode_16_64 0
		.amdhsa_float_denorm_mode_32 3
		.amdhsa_float_denorm_mode_16_64 3
		.amdhsa_dx10_clamp 1
		.amdhsa_ieee_mode 1
		.amdhsa_fp16_overflow 0
		.amdhsa_workgroup_processor_mode 1
		.amdhsa_memory_ordered 1
		.amdhsa_forward_progress 0
		.amdhsa_shared_vgpr_count 0
		.amdhsa_exception_fp_ieee_invalid_op 0
		.amdhsa_exception_fp_denorm_src 0
		.amdhsa_exception_fp_ieee_div_zero 0
		.amdhsa_exception_fp_ieee_overflow 0
		.amdhsa_exception_fp_ieee_underflow 0
		.amdhsa_exception_fp_ieee_inexact 0
		.amdhsa_exception_int_div_zero 0
	.end_amdhsa_kernel
	.section	.text._Z30warp_striped_to_blocked_kernelIc5dummyIdELj928ELj2EEvPT_PT0_,"axG",@progbits,_Z30warp_striped_to_blocked_kernelIc5dummyIdELj928ELj2EEvPT_PT0_,comdat
.Lfunc_end59:
	.size	_Z30warp_striped_to_blocked_kernelIc5dummyIdELj928ELj2EEvPT_PT0_, .Lfunc_end59-_Z30warp_striped_to_blocked_kernelIc5dummyIdELj928ELj2EEvPT_PT0_
                                        ; -- End function
	.section	.AMDGPU.csdata,"",@progbits
; Kernel info:
; codeLenInByte = 280
; NumSgprs: 18
; NumVgprs: 9
; ScratchSize: 0
; MemoryBound: 0
; FloatMode: 240
; IeeeMode: 1
; LDSByteSize: 960 bytes/workgroup (compile time only)
; SGPRBlocks: 2
; VGPRBlocks: 1
; NumSGPRsForWavesPerEU: 18
; NumVGPRsForWavesPerEU: 9
; Occupancy: 16
; WaveLimiterHint : 0
; COMPUTE_PGM_RSRC2:SCRATCH_EN: 0
; COMPUTE_PGM_RSRC2:USER_SGPR: 15
; COMPUTE_PGM_RSRC2:TRAP_HANDLER: 0
; COMPUTE_PGM_RSRC2:TGID_X_EN: 1
; COMPUTE_PGM_RSRC2:TGID_Y_EN: 0
; COMPUTE_PGM_RSRC2:TGID_Z_EN: 0
; COMPUTE_PGM_RSRC2:TIDIG_COMP_CNT: 0
	.section	.text._Z30warp_striped_to_blocked_kernelIfiLj165ELj5EEvPT_PT0_,"axG",@progbits,_Z30warp_striped_to_blocked_kernelIfiLj165ELj5EEvPT_PT0_,comdat
	.protected	_Z30warp_striped_to_blocked_kernelIfiLj165ELj5EEvPT_PT0_ ; -- Begin function _Z30warp_striped_to_blocked_kernelIfiLj165ELj5EEvPT_PT0_
	.globl	_Z30warp_striped_to_blocked_kernelIfiLj165ELj5EEvPT_PT0_
	.p2align	8
	.type	_Z30warp_striped_to_blocked_kernelIfiLj165ELj5EEvPT_PT0_,@function
_Z30warp_striped_to_blocked_kernelIfiLj165ELj5EEvPT_PT0_: ; @_Z30warp_striped_to_blocked_kernelIfiLj165ELj5EEvPT_PT0_
; %bb.0:
	s_load_b128 s[0:3], s[0:1], 0x0
	v_mul_u32_u24_e32 v1, 5, v0
	s_mov_b32 s5, 0
	s_mul_i32 s4, s15, 0xa5
	v_lshrrev_b32_e32 v7, 5, v0
	s_lshl_b64 s[4:5], s[4:5], 2
	v_lshlrev_b32_e32 v5, 2, v1
	v_and_b32_e32 v0, 0x1e0, v0
	v_mbcnt_lo_u32_b32 v8, -1, 0
	v_mul_u32_u24_e32 v7, 0xa0, v7
	s_delay_alu instid0(VALU_DEP_3) | instskip(NEXT) | instid1(VALU_DEP_2)
	v_cmp_eq_u32_e32 vcc_lo, 32, v0
	v_or_b32_e32 v7, v8, v7
	v_cndmask_b32_e64 v0, 5, 0, vcc_lo
	s_delay_alu instid0(VALU_DEP_2)
	v_lshlrev_b32_e32 v7, 2, v7
	s_waitcnt lgkmcnt(0)
	s_add_u32 s0, s0, s4
	s_addc_u32 s1, s1, s5
	v_lshlrev_b32_e64 v9, v0, 1
	s_clause 0x1
	global_load_b128 v[1:4], v5, s[0:1]
	global_load_b32 v6, v5, s[0:1] offset:16
	v_lshlrev_b32_e64 v10, v0, 2
	v_lshlrev_b32_e64 v11, v0, 3
	;; [unrolled: 1-line block ×3, first 2 shown]
	v_lshl_add_u32 v8, v8, 4, v7
	v_lshl_add_u32 v9, v9, 2, v7
	;; [unrolled: 1-line block ×5, first 2 shown]
	s_add_u32 s0, s2, s4
	s_addc_u32 s1, s3, s5
	s_waitcnt vmcnt(1)
	ds_store_b32 v7, v1
	ds_store_b32 v9, v2
	;; [unrolled: 1-line block ×4, first 2 shown]
	s_waitcnt vmcnt(0)
	ds_store_b32 v0, v6
	; wave barrier
	ds_load_2addr_b32 v[0:1], v8 offset1:1
	ds_load_2addr_b32 v[2:3], v8 offset0:2 offset1:3
	ds_load_b32 v4, v8 offset:16
	s_waitcnt lgkmcnt(2)
	v_cvt_i32_f32_e32 v0, v0
	v_cvt_i32_f32_e32 v1, v1
	s_waitcnt lgkmcnt(1)
	v_cvt_i32_f32_e32 v2, v2
	v_cvt_i32_f32_e32 v3, v3
	s_waitcnt lgkmcnt(0)
	v_cvt_i32_f32_e32 v4, v4
	s_clause 0x1
	global_store_b128 v5, v[0:3], s[0:1]
	global_store_b32 v5, v4, s[0:1] offset:16
	s_nop 0
	s_sendmsg sendmsg(MSG_DEALLOC_VGPRS)
	s_endpgm
	.section	.rodata,"a",@progbits
	.p2align	6, 0x0
	.amdhsa_kernel _Z30warp_striped_to_blocked_kernelIfiLj165ELj5EEvPT_PT0_
		.amdhsa_group_segment_fixed_size 672
		.amdhsa_private_segment_fixed_size 0
		.amdhsa_kernarg_size 16
		.amdhsa_user_sgpr_count 15
		.amdhsa_user_sgpr_dispatch_ptr 0
		.amdhsa_user_sgpr_queue_ptr 0
		.amdhsa_user_sgpr_kernarg_segment_ptr 1
		.amdhsa_user_sgpr_dispatch_id 0
		.amdhsa_user_sgpr_private_segment_size 0
		.amdhsa_wavefront_size32 1
		.amdhsa_uses_dynamic_stack 0
		.amdhsa_enable_private_segment 0
		.amdhsa_system_sgpr_workgroup_id_x 1
		.amdhsa_system_sgpr_workgroup_id_y 0
		.amdhsa_system_sgpr_workgroup_id_z 0
		.amdhsa_system_sgpr_workgroup_info 0
		.amdhsa_system_vgpr_workitem_id 0
		.amdhsa_next_free_vgpr 12
		.amdhsa_next_free_sgpr 16
		.amdhsa_reserve_vcc 1
		.amdhsa_float_round_mode_32 0
		.amdhsa_float_round_mode_16_64 0
		.amdhsa_float_denorm_mode_32 3
		.amdhsa_float_denorm_mode_16_64 3
		.amdhsa_dx10_clamp 1
		.amdhsa_ieee_mode 1
		.amdhsa_fp16_overflow 0
		.amdhsa_workgroup_processor_mode 1
		.amdhsa_memory_ordered 1
		.amdhsa_forward_progress 0
		.amdhsa_shared_vgpr_count 0
		.amdhsa_exception_fp_ieee_invalid_op 0
		.amdhsa_exception_fp_denorm_src 0
		.amdhsa_exception_fp_ieee_div_zero 0
		.amdhsa_exception_fp_ieee_overflow 0
		.amdhsa_exception_fp_ieee_underflow 0
		.amdhsa_exception_fp_ieee_inexact 0
		.amdhsa_exception_int_div_zero 0
	.end_amdhsa_kernel
	.section	.text._Z30warp_striped_to_blocked_kernelIfiLj165ELj5EEvPT_PT0_,"axG",@progbits,_Z30warp_striped_to_blocked_kernelIfiLj165ELj5EEvPT_PT0_,comdat
.Lfunc_end60:
	.size	_Z30warp_striped_to_blocked_kernelIfiLj165ELj5EEvPT_PT0_, .Lfunc_end60-_Z30warp_striped_to_blocked_kernelIfiLj165ELj5EEvPT_PT0_
                                        ; -- End function
	.section	.AMDGPU.csdata,"",@progbits
; Kernel info:
; codeLenInByte = 336
; NumSgprs: 18
; NumVgprs: 12
; ScratchSize: 0
; MemoryBound: 0
; FloatMode: 240
; IeeeMode: 1
; LDSByteSize: 672 bytes/workgroup (compile time only)
; SGPRBlocks: 2
; VGPRBlocks: 1
; NumSGPRsForWavesPerEU: 18
; NumVGPRsForWavesPerEU: 12
; Occupancy: 16
; WaveLimiterHint : 0
; COMPUTE_PGM_RSRC2:SCRATCH_EN: 0
; COMPUTE_PGM_RSRC2:USER_SGPR: 15
; COMPUTE_PGM_RSRC2:TRAP_HANDLER: 0
; COMPUTE_PGM_RSRC2:TGID_X_EN: 1
; COMPUTE_PGM_RSRC2:TGID_Y_EN: 0
; COMPUTE_PGM_RSRC2:TGID_Z_EN: 0
; COMPUTE_PGM_RSRC2:TIDIG_COMP_CNT: 0
	.section	.text._Z30warp_striped_to_blocked_kernelIidLj165ELj5EEvPT_PT0_,"axG",@progbits,_Z30warp_striped_to_blocked_kernelIidLj165ELj5EEvPT_PT0_,comdat
	.protected	_Z30warp_striped_to_blocked_kernelIidLj165ELj5EEvPT_PT0_ ; -- Begin function _Z30warp_striped_to_blocked_kernelIidLj165ELj5EEvPT_PT0_
	.globl	_Z30warp_striped_to_blocked_kernelIidLj165ELj5EEvPT_PT0_
	.p2align	8
	.type	_Z30warp_striped_to_blocked_kernelIidLj165ELj5EEvPT_PT0_,@function
_Z30warp_striped_to_blocked_kernelIidLj165ELj5EEvPT_PT0_: ; @_Z30warp_striped_to_blocked_kernelIidLj165ELj5EEvPT_PT0_
; %bb.0:
	s_load_b128 s[0:3], s[0:1], 0x0
	v_mul_u32_u24_e32 v10, 5, v0
	s_mov_b32 s5, 0
	s_mul_i32 s4, s15, 0xa5
	v_lshrrev_b32_e32 v6, 5, v0
	s_lshl_b64 s[6:7], s[4:5], 2
	v_lshlrev_b32_e32 v5, 2, v10
	v_and_b32_e32 v0, 0x1e0, v0
	v_mbcnt_lo_u32_b32 v7, -1, 0
	v_mul_u32_u24_e32 v6, 0xa0, v6
	v_lshlrev_b32_e32 v10, 3, v10
	s_delay_alu instid0(VALU_DEP_4) | instskip(NEXT) | instid1(VALU_DEP_3)
	v_cmp_eq_u32_e32 vcc_lo, 32, v0
	v_or_b32_e32 v6, v7, v6
	v_cndmask_b32_e64 v0, 5, 0, vcc_lo
	s_delay_alu instid0(VALU_DEP_2)
	v_lshlrev_b32_e32 v6, 2, v6
	s_waitcnt lgkmcnt(0)
	s_add_u32 s0, s0, s6
	s_addc_u32 s1, s1, s7
	v_lshlrev_b32_e64 v8, v0, 1
	s_clause 0x1
	global_load_b128 v[1:4], v5, s[0:1]
	global_load_b32 v5, v5, s[0:1] offset:16
	v_lshlrev_b32_e64 v9, v0, 2
	v_lshlrev_b32_e64 v11, v0, 3
	;; [unrolled: 1-line block ×3, first 2 shown]
	v_lshl_add_u32 v7, v7, 4, v6
	v_lshl_add_u32 v8, v8, 2, v6
	;; [unrolled: 1-line block ×5, first 2 shown]
	s_lshl_b64 s[0:1], s[4:5], 3
	s_waitcnt vmcnt(1)
	ds_store_b32 v6, v1
	ds_store_b32 v8, v2
	;; [unrolled: 1-line block ×4, first 2 shown]
	s_waitcnt vmcnt(0)
	ds_store_b32 v0, v5
	; wave barrier
	ds_load_2addr_b32 v[1:2], v7 offset1:1
	ds_load_2addr_b32 v[5:6], v7 offset0:2 offset1:3
	ds_load_b32 v8, v7 offset:16
	s_add_u32 s0, s2, s0
	s_addc_u32 s1, s3, s1
	s_waitcnt lgkmcnt(2)
	v_cvt_f64_i32_e32 v[0:1], v1
	v_cvt_f64_i32_e32 v[2:3], v2
	s_waitcnt lgkmcnt(1)
	v_cvt_f64_i32_e32 v[4:5], v5
	v_cvt_f64_i32_e32 v[6:7], v6
	s_waitcnt lgkmcnt(0)
	v_cvt_f64_i32_e32 v[8:9], v8
	s_clause 0x2
	global_store_b128 v10, v[0:3], s[0:1]
	global_store_b128 v10, v[4:7], s[0:1] offset:16
	global_store_b64 v10, v[8:9], s[0:1] offset:32
	s_nop 0
	s_sendmsg sendmsg(MSG_DEALLOC_VGPRS)
	s_endpgm
	.section	.rodata,"a",@progbits
	.p2align	6, 0x0
	.amdhsa_kernel _Z30warp_striped_to_blocked_kernelIidLj165ELj5EEvPT_PT0_
		.amdhsa_group_segment_fixed_size 672
		.amdhsa_private_segment_fixed_size 0
		.amdhsa_kernarg_size 16
		.amdhsa_user_sgpr_count 15
		.amdhsa_user_sgpr_dispatch_ptr 0
		.amdhsa_user_sgpr_queue_ptr 0
		.amdhsa_user_sgpr_kernarg_segment_ptr 1
		.amdhsa_user_sgpr_dispatch_id 0
		.amdhsa_user_sgpr_private_segment_size 0
		.amdhsa_wavefront_size32 1
		.amdhsa_uses_dynamic_stack 0
		.amdhsa_enable_private_segment 0
		.amdhsa_system_sgpr_workgroup_id_x 1
		.amdhsa_system_sgpr_workgroup_id_y 0
		.amdhsa_system_sgpr_workgroup_id_z 0
		.amdhsa_system_sgpr_workgroup_info 0
		.amdhsa_system_vgpr_workitem_id 0
		.amdhsa_next_free_vgpr 12
		.amdhsa_next_free_sgpr 16
		.amdhsa_reserve_vcc 1
		.amdhsa_float_round_mode_32 0
		.amdhsa_float_round_mode_16_64 0
		.amdhsa_float_denorm_mode_32 3
		.amdhsa_float_denorm_mode_16_64 3
		.amdhsa_dx10_clamp 1
		.amdhsa_ieee_mode 1
		.amdhsa_fp16_overflow 0
		.amdhsa_workgroup_processor_mode 1
		.amdhsa_memory_ordered 1
		.amdhsa_forward_progress 0
		.amdhsa_shared_vgpr_count 0
		.amdhsa_exception_fp_ieee_invalid_op 0
		.amdhsa_exception_fp_denorm_src 0
		.amdhsa_exception_fp_ieee_div_zero 0
		.amdhsa_exception_fp_ieee_overflow 0
		.amdhsa_exception_fp_ieee_underflow 0
		.amdhsa_exception_fp_ieee_inexact 0
		.amdhsa_exception_int_div_zero 0
	.end_amdhsa_kernel
	.section	.text._Z30warp_striped_to_blocked_kernelIidLj165ELj5EEvPT_PT0_,"axG",@progbits,_Z30warp_striped_to_blocked_kernelIidLj165ELj5EEvPT_PT0_,comdat
.Lfunc_end61:
	.size	_Z30warp_striped_to_blocked_kernelIidLj165ELj5EEvPT_PT0_, .Lfunc_end61-_Z30warp_striped_to_blocked_kernelIidLj165ELj5EEvPT_PT0_
                                        ; -- End function
	.section	.AMDGPU.csdata,"",@progbits
; Kernel info:
; codeLenInByte = 352
; NumSgprs: 18
; NumVgprs: 12
; ScratchSize: 0
; MemoryBound: 0
; FloatMode: 240
; IeeeMode: 1
; LDSByteSize: 672 bytes/workgroup (compile time only)
; SGPRBlocks: 2
; VGPRBlocks: 1
; NumSGPRsForWavesPerEU: 18
; NumVGPRsForWavesPerEU: 12
; Occupancy: 16
; WaveLimiterHint : 0
; COMPUTE_PGM_RSRC2:SCRATCH_EN: 0
; COMPUTE_PGM_RSRC2:USER_SGPR: 15
; COMPUTE_PGM_RSRC2:TRAP_HANDLER: 0
; COMPUTE_PGM_RSRC2:TGID_X_EN: 1
; COMPUTE_PGM_RSRC2:TGID_Y_EN: 0
; COMPUTE_PGM_RSRC2:TGID_Z_EN: 0
; COMPUTE_PGM_RSRC2:TIDIG_COMP_CNT: 0
	.section	.text._Z30warp_striped_to_blocked_kernelIyyLj192ELj3EEvPT_PT0_,"axG",@progbits,_Z30warp_striped_to_blocked_kernelIyyLj192ELj3EEvPT_PT0_,comdat
	.protected	_Z30warp_striped_to_blocked_kernelIyyLj192ELj3EEvPT_PT0_ ; -- Begin function _Z30warp_striped_to_blocked_kernelIyyLj192ELj3EEvPT_PT0_
	.globl	_Z30warp_striped_to_blocked_kernelIyyLj192ELj3EEvPT_PT0_
	.p2align	8
	.type	_Z30warp_striped_to_blocked_kernelIyyLj192ELj3EEvPT_PT0_,@function
_Z30warp_striped_to_blocked_kernelIyyLj192ELj3EEvPT_PT0_: ; @_Z30warp_striped_to_blocked_kernelIyyLj192ELj3EEvPT_PT0_
; %bb.0:
	s_load_b128 s[0:3], s[0:1], 0x0
	v_mul_u32_u24_e32 v1, 3, v0
	s_mov_b32 s5, 0
	s_mul_i32 s4, s15, 0xc0
	v_lshrrev_b32_e32 v0, 5, v0
	s_lshl_b64 s[4:5], s[4:5], 3
	v_lshlrev_b32_e32 v7, 3, v1
	v_mbcnt_lo_u32_b32 v8, -1, 0
	s_delay_alu instid0(VALU_DEP_3) | instskip(NEXT) | instid1(VALU_DEP_1)
	v_mul_u32_u24_e32 v0, 0x60, v0
	v_or_b32_e32 v0, v8, v0
	s_delay_alu instid0(VALU_DEP_1)
	v_lshlrev_b32_e32 v0, 3, v0
	s_waitcnt lgkmcnt(0)
	s_add_u32 s0, s0, s4
	s_addc_u32 s1, s1, s5
	s_clause 0x1
	global_load_b128 v[1:4], v7, s[0:1]
	global_load_b64 v[5:6], v7, s[0:1] offset:16
	v_lshl_add_u32 v8, v8, 4, v0
	s_add_u32 s0, s2, s4
	s_addc_u32 s1, s3, s5
	s_waitcnt vmcnt(1)
	ds_store_2addr_b64 v0, v[1:2], v[3:4] offset1:32
	s_waitcnt vmcnt(0)
	ds_store_b64 v0, v[5:6] offset:512
	; wave barrier
	ds_load_2addr_b64 v[0:3], v8 offset1:1
	ds_load_b64 v[4:5], v8 offset:16
	s_waitcnt lgkmcnt(1)
	global_store_b128 v7, v[0:3], s[0:1]
	s_waitcnt lgkmcnt(0)
	global_store_b64 v7, v[4:5], s[0:1] offset:16
	s_nop 0
	s_sendmsg sendmsg(MSG_DEALLOC_VGPRS)
	s_endpgm
	.section	.rodata,"a",@progbits
	.p2align	6, 0x0
	.amdhsa_kernel _Z30warp_striped_to_blocked_kernelIyyLj192ELj3EEvPT_PT0_
		.amdhsa_group_segment_fixed_size 1536
		.amdhsa_private_segment_fixed_size 0
		.amdhsa_kernarg_size 16
		.amdhsa_user_sgpr_count 15
		.amdhsa_user_sgpr_dispatch_ptr 0
		.amdhsa_user_sgpr_queue_ptr 0
		.amdhsa_user_sgpr_kernarg_segment_ptr 1
		.amdhsa_user_sgpr_dispatch_id 0
		.amdhsa_user_sgpr_private_segment_size 0
		.amdhsa_wavefront_size32 1
		.amdhsa_uses_dynamic_stack 0
		.amdhsa_enable_private_segment 0
		.amdhsa_system_sgpr_workgroup_id_x 1
		.amdhsa_system_sgpr_workgroup_id_y 0
		.amdhsa_system_sgpr_workgroup_id_z 0
		.amdhsa_system_sgpr_workgroup_info 0
		.amdhsa_system_vgpr_workitem_id 0
		.amdhsa_next_free_vgpr 9
		.amdhsa_next_free_sgpr 16
		.amdhsa_reserve_vcc 0
		.amdhsa_float_round_mode_32 0
		.amdhsa_float_round_mode_16_64 0
		.amdhsa_float_denorm_mode_32 3
		.amdhsa_float_denorm_mode_16_64 3
		.amdhsa_dx10_clamp 1
		.amdhsa_ieee_mode 1
		.amdhsa_fp16_overflow 0
		.amdhsa_workgroup_processor_mode 1
		.amdhsa_memory_ordered 1
		.amdhsa_forward_progress 0
		.amdhsa_shared_vgpr_count 0
		.amdhsa_exception_fp_ieee_invalid_op 0
		.amdhsa_exception_fp_denorm_src 0
		.amdhsa_exception_fp_ieee_div_zero 0
		.amdhsa_exception_fp_ieee_overflow 0
		.amdhsa_exception_fp_ieee_underflow 0
		.amdhsa_exception_fp_ieee_inexact 0
		.amdhsa_exception_int_div_zero 0
	.end_amdhsa_kernel
	.section	.text._Z30warp_striped_to_blocked_kernelIyyLj192ELj3EEvPT_PT0_,"axG",@progbits,_Z30warp_striped_to_blocked_kernelIyyLj192ELj3EEvPT_PT0_,comdat
.Lfunc_end62:
	.size	_Z30warp_striped_to_blocked_kernelIyyLj192ELj3EEvPT_PT0_, .Lfunc_end62-_Z30warp_striped_to_blocked_kernelIyyLj192ELj3EEvPT_PT0_
                                        ; -- End function
	.section	.AMDGPU.csdata,"",@progbits
; Kernel info:
; codeLenInByte = 192
; NumSgprs: 16
; NumVgprs: 9
; ScratchSize: 0
; MemoryBound: 0
; FloatMode: 240
; IeeeMode: 1
; LDSByteSize: 1536 bytes/workgroup (compile time only)
; SGPRBlocks: 1
; VGPRBlocks: 1
; NumSGPRsForWavesPerEU: 16
; NumVGPRsForWavesPerEU: 9
; Occupancy: 16
; WaveLimiterHint : 0
; COMPUTE_PGM_RSRC2:SCRATCH_EN: 0
; COMPUTE_PGM_RSRC2:USER_SGPR: 15
; COMPUTE_PGM_RSRC2:TRAP_HANDLER: 0
; COMPUTE_PGM_RSRC2:TGID_X_EN: 1
; COMPUTE_PGM_RSRC2:TGID_Y_EN: 0
; COMPUTE_PGM_RSRC2:TGID_Z_EN: 0
; COMPUTE_PGM_RSRC2:TIDIG_COMP_CNT: 0
	.section	.text._Z30warp_striped_to_blocked_kernelIiiLj384ELj3EEvPT_PT0_,"axG",@progbits,_Z30warp_striped_to_blocked_kernelIiiLj384ELj3EEvPT_PT0_,comdat
	.protected	_Z30warp_striped_to_blocked_kernelIiiLj384ELj3EEvPT_PT0_ ; -- Begin function _Z30warp_striped_to_blocked_kernelIiiLj384ELj3EEvPT_PT0_
	.globl	_Z30warp_striped_to_blocked_kernelIiiLj384ELj3EEvPT_PT0_
	.p2align	8
	.type	_Z30warp_striped_to_blocked_kernelIiiLj384ELj3EEvPT_PT0_,@function
_Z30warp_striped_to_blocked_kernelIiiLj384ELj3EEvPT_PT0_: ; @_Z30warp_striped_to_blocked_kernelIiiLj384ELj3EEvPT_PT0_
; %bb.0:
	s_load_b128 s[0:3], s[0:1], 0x0
	v_mul_u32_u24_e32 v1, 3, v0
	s_mov_b32 s5, 0
	s_mul_i32 s4, s15, 0x180
	v_lshrrev_b32_e32 v0, 5, v0
	s_lshl_b64 s[4:5], s[4:5], 2
	v_lshlrev_b32_e32 v4, 2, v1
	v_mbcnt_lo_u32_b32 v5, -1, 0
	s_delay_alu instid0(VALU_DEP_3) | instskip(NEXT) | instid1(VALU_DEP_1)
	v_mul_u32_u24_e32 v0, 0x60, v0
	v_or_b32_e32 v0, v5, v0
	s_delay_alu instid0(VALU_DEP_1)
	v_lshlrev_b32_e32 v0, 2, v0
	s_waitcnt lgkmcnt(0)
	s_add_u32 s0, s0, s4
	s_addc_u32 s1, s1, s5
	global_load_b96 v[1:3], v4, s[0:1]
	v_lshl_add_u32 v5, v5, 3, v0
	s_add_u32 s0, s2, s4
	s_addc_u32 s1, s3, s5
	s_waitcnt vmcnt(0)
	ds_store_2addr_b32 v0, v1, v2 offset1:32
	ds_store_b32 v0, v3 offset:256
	; wave barrier
	ds_load_2addr_b32 v[0:1], v5 offset1:1
	ds_load_b32 v2, v5 offset:8
	s_waitcnt lgkmcnt(0)
	global_store_b96 v4, v[0:2], s[0:1]
	s_nop 0
	s_sendmsg sendmsg(MSG_DEALLOC_VGPRS)
	s_endpgm
	.section	.rodata,"a",@progbits
	.p2align	6, 0x0
	.amdhsa_kernel _Z30warp_striped_to_blocked_kernelIiiLj384ELj3EEvPT_PT0_
		.amdhsa_group_segment_fixed_size 1536
		.amdhsa_private_segment_fixed_size 0
		.amdhsa_kernarg_size 16
		.amdhsa_user_sgpr_count 15
		.amdhsa_user_sgpr_dispatch_ptr 0
		.amdhsa_user_sgpr_queue_ptr 0
		.amdhsa_user_sgpr_kernarg_segment_ptr 1
		.amdhsa_user_sgpr_dispatch_id 0
		.amdhsa_user_sgpr_private_segment_size 0
		.amdhsa_wavefront_size32 1
		.amdhsa_uses_dynamic_stack 0
		.amdhsa_enable_private_segment 0
		.amdhsa_system_sgpr_workgroup_id_x 1
		.amdhsa_system_sgpr_workgroup_id_y 0
		.amdhsa_system_sgpr_workgroup_id_z 0
		.amdhsa_system_sgpr_workgroup_info 0
		.amdhsa_system_vgpr_workitem_id 0
		.amdhsa_next_free_vgpr 6
		.amdhsa_next_free_sgpr 16
		.amdhsa_reserve_vcc 0
		.amdhsa_float_round_mode_32 0
		.amdhsa_float_round_mode_16_64 0
		.amdhsa_float_denorm_mode_32 3
		.amdhsa_float_denorm_mode_16_64 3
		.amdhsa_dx10_clamp 1
		.amdhsa_ieee_mode 1
		.amdhsa_fp16_overflow 0
		.amdhsa_workgroup_processor_mode 1
		.amdhsa_memory_ordered 1
		.amdhsa_forward_progress 0
		.amdhsa_shared_vgpr_count 0
		.amdhsa_exception_fp_ieee_invalid_op 0
		.amdhsa_exception_fp_denorm_src 0
		.amdhsa_exception_fp_ieee_div_zero 0
		.amdhsa_exception_fp_ieee_overflow 0
		.amdhsa_exception_fp_ieee_underflow 0
		.amdhsa_exception_fp_ieee_inexact 0
		.amdhsa_exception_int_div_zero 0
	.end_amdhsa_kernel
	.section	.text._Z30warp_striped_to_blocked_kernelIiiLj384ELj3EEvPT_PT0_,"axG",@progbits,_Z30warp_striped_to_blocked_kernelIiiLj384ELj3EEvPT_PT0_,comdat
.Lfunc_end63:
	.size	_Z30warp_striped_to_blocked_kernelIiiLj384ELj3EEvPT_PT0_, .Lfunc_end63-_Z30warp_striped_to_blocked_kernelIiiLj384ELj3EEvPT_PT0_
                                        ; -- End function
	.section	.AMDGPU.csdata,"",@progbits
; Kernel info:
; codeLenInByte = 164
; NumSgprs: 16
; NumVgprs: 6
; ScratchSize: 0
; MemoryBound: 0
; FloatMode: 240
; IeeeMode: 1
; LDSByteSize: 1536 bytes/workgroup (compile time only)
; SGPRBlocks: 1
; VGPRBlocks: 0
; NumSGPRsForWavesPerEU: 16
; NumVGPRsForWavesPerEU: 6
; Occupancy: 16
; WaveLimiterHint : 0
; COMPUTE_PGM_RSRC2:SCRATCH_EN: 0
; COMPUTE_PGM_RSRC2:USER_SGPR: 15
; COMPUTE_PGM_RSRC2:TRAP_HANDLER: 0
; COMPUTE_PGM_RSRC2:TGID_X_EN: 1
; COMPUTE_PGM_RSRC2:TGID_Y_EN: 0
; COMPUTE_PGM_RSRC2:TGID_Z_EN: 0
; COMPUTE_PGM_RSRC2:TIDIG_COMP_CNT: 0
	.section	.text._Z30warp_striped_to_blocked_kernelIs5dummyIfELj896ELj7EEvPT_PT0_,"axG",@progbits,_Z30warp_striped_to_blocked_kernelIs5dummyIfELj896ELj7EEvPT_PT0_,comdat
	.protected	_Z30warp_striped_to_blocked_kernelIs5dummyIfELj896ELj7EEvPT_PT0_ ; -- Begin function _Z30warp_striped_to_blocked_kernelIs5dummyIfELj896ELj7EEvPT_PT0_
	.globl	_Z30warp_striped_to_blocked_kernelIs5dummyIfELj896ELj7EEvPT_PT0_
	.p2align	8
	.type	_Z30warp_striped_to_blocked_kernelIs5dummyIfELj896ELj7EEvPT_PT0_,@function
_Z30warp_striped_to_blocked_kernelIs5dummyIfELj896ELj7EEvPT_PT0_: ; @_Z30warp_striped_to_blocked_kernelIs5dummyIfELj896ELj7EEvPT_PT0_
; %bb.0:
	s_load_b128 s[0:3], s[0:1], 0x0
	v_mul_u32_u24_e32 v4, 7, v0
	s_mov_b32 s5, 0
	s_mul_i32 s4, s15, 0x380
	v_lshrrev_b32_e32 v0, 5, v0
	s_lshl_b64 s[6:7], s[4:5], 1
	v_lshlrev_b32_e32 v5, 1, v4
	v_mbcnt_lo_u32_b32 v6, -1, 0
	v_lshlrev_b32_e32 v14, 3, v4
	v_mul_u32_u24_e32 v0, 0xe0, v0
	s_delay_alu instid0(VALU_DEP_1) | instskip(NEXT) | instid1(VALU_DEP_1)
	v_or_b32_e32 v0, v6, v0
	v_lshlrev_b32_e32 v0, 1, v0
	s_waitcnt lgkmcnt(0)
	s_add_u32 s0, s0, s6
	s_addc_u32 s1, s1, s7
	s_clause 0x1
	global_load_b96 v[1:3], v5, s[0:1]
	global_load_u16 v5, v5, s[0:1] offset:12
	v_mad_u32_u24 v6, v6, 12, v0
	s_lshl_b64 s[0:1], s[4:5], 3
	s_waitcnt vmcnt(1)
	ds_store_b16 v0, v1
	ds_store_b16_d16_hi v0, v1 offset:64
	ds_store_b16 v0, v2 offset:128
	ds_store_b16_d16_hi v0, v2 offset:192
	ds_store_b16 v0, v3 offset:256
	ds_store_b16_d16_hi v0, v3 offset:320
	s_waitcnt vmcnt(0)
	ds_store_b16 v0, v5 offset:384
	; wave barrier
	ds_load_b96 v[0:2], v6
	ds_load_i16 v3, v6 offset:12
	s_add_u32 s0, s2, s0
	s_addc_u32 s1, s3, s1
	s_waitcnt lgkmcnt(1)
	v_bfe_i32 v4, v0, 0, 16
	v_ashrrev_i32_e32 v0, 16, v0
	v_bfe_i32 v5, v1, 0, 16
	v_ashrrev_i32_e32 v1, 16, v1
	;; [unrolled: 2-line block ×3, first 2 shown]
	s_waitcnt lgkmcnt(0)
	v_add_nc_u32_e32 v7, 1, v3
	v_lshlrev_b32_e32 v3, 1, v3
	v_add_nc_u32_e32 v8, 1, v4
	v_lshlrev_b32_e32 v4, 1, v4
	;; [unrolled: 2-line block ×7, first 2 shown]
	v_cvt_f32_i32_e32 v13, v3
	v_cvt_f32_i32_e32 v0, v8
	;; [unrolled: 1-line block ×14, first 2 shown]
	s_clause 0x3
	global_store_b128 v14, v[0:3], s[0:1]
	global_store_b128 v14, v[4:7], s[0:1] offset:16
	global_store_b128 v14, v[8:11], s[0:1] offset:32
	global_store_b64 v14, v[12:13], s[0:1] offset:48
	s_nop 0
	s_sendmsg sendmsg(MSG_DEALLOC_VGPRS)
	s_endpgm
	.section	.rodata,"a",@progbits
	.p2align	6, 0x0
	.amdhsa_kernel _Z30warp_striped_to_blocked_kernelIs5dummyIfELj896ELj7EEvPT_PT0_
		.amdhsa_group_segment_fixed_size 1792
		.amdhsa_private_segment_fixed_size 0
		.amdhsa_kernarg_size 16
		.amdhsa_user_sgpr_count 15
		.amdhsa_user_sgpr_dispatch_ptr 0
		.amdhsa_user_sgpr_queue_ptr 0
		.amdhsa_user_sgpr_kernarg_segment_ptr 1
		.amdhsa_user_sgpr_dispatch_id 0
		.amdhsa_user_sgpr_private_segment_size 0
		.amdhsa_wavefront_size32 1
		.amdhsa_uses_dynamic_stack 0
		.amdhsa_enable_private_segment 0
		.amdhsa_system_sgpr_workgroup_id_x 1
		.amdhsa_system_sgpr_workgroup_id_y 0
		.amdhsa_system_sgpr_workgroup_id_z 0
		.amdhsa_system_sgpr_workgroup_info 0
		.amdhsa_system_vgpr_workitem_id 0
		.amdhsa_next_free_vgpr 21
		.amdhsa_next_free_sgpr 16
		.amdhsa_reserve_vcc 0
		.amdhsa_float_round_mode_32 0
		.amdhsa_float_round_mode_16_64 0
		.amdhsa_float_denorm_mode_32 3
		.amdhsa_float_denorm_mode_16_64 3
		.amdhsa_dx10_clamp 1
		.amdhsa_ieee_mode 1
		.amdhsa_fp16_overflow 0
		.amdhsa_workgroup_processor_mode 1
		.amdhsa_memory_ordered 1
		.amdhsa_forward_progress 0
		.amdhsa_shared_vgpr_count 0
		.amdhsa_exception_fp_ieee_invalid_op 0
		.amdhsa_exception_fp_denorm_src 0
		.amdhsa_exception_fp_ieee_div_zero 0
		.amdhsa_exception_fp_ieee_overflow 0
		.amdhsa_exception_fp_ieee_underflow 0
		.amdhsa_exception_fp_ieee_inexact 0
		.amdhsa_exception_int_div_zero 0
	.end_amdhsa_kernel
	.section	.text._Z30warp_striped_to_blocked_kernelIs5dummyIfELj896ELj7EEvPT_PT0_,"axG",@progbits,_Z30warp_striped_to_blocked_kernelIs5dummyIfELj896ELj7EEvPT_PT0_,comdat
.Lfunc_end64:
	.size	_Z30warp_striped_to_blocked_kernelIs5dummyIfELj896ELj7EEvPT_PT0_, .Lfunc_end64-_Z30warp_striped_to_blocked_kernelIs5dummyIfELj896ELj7EEvPT_PT0_
                                        ; -- End function
	.section	.AMDGPU.csdata,"",@progbits
; Kernel info:
; codeLenInByte = 404
; NumSgprs: 16
; NumVgprs: 21
; ScratchSize: 0
; MemoryBound: 0
; FloatMode: 240
; IeeeMode: 1
; LDSByteSize: 1792 bytes/workgroup (compile time only)
; SGPRBlocks: 1
; VGPRBlocks: 2
; NumSGPRsForWavesPerEU: 16
; NumVGPRsForWavesPerEU: 21
; Occupancy: 16
; WaveLimiterHint : 0
; COMPUTE_PGM_RSRC2:SCRATCH_EN: 0
; COMPUTE_PGM_RSRC2:USER_SGPR: 15
; COMPUTE_PGM_RSRC2:TRAP_HANDLER: 0
; COMPUTE_PGM_RSRC2:TGID_X_EN: 1
; COMPUTE_PGM_RSRC2:TGID_Y_EN: 0
; COMPUTE_PGM_RSRC2:TGID_Z_EN: 0
; COMPUTE_PGM_RSRC2:TIDIG_COMP_CNT: 0
	.section	.text._Z30warp_striped_to_blocked_kernelIiiLj2560ELj5EEvPT_PT0_,"axG",@progbits,_Z30warp_striped_to_blocked_kernelIiiLj2560ELj5EEvPT_PT0_,comdat
	.protected	_Z30warp_striped_to_blocked_kernelIiiLj2560ELj5EEvPT_PT0_ ; -- Begin function _Z30warp_striped_to_blocked_kernelIiiLj2560ELj5EEvPT_PT0_
	.globl	_Z30warp_striped_to_blocked_kernelIiiLj2560ELj5EEvPT_PT0_
	.p2align	8
	.type	_Z30warp_striped_to_blocked_kernelIiiLj2560ELj5EEvPT_PT0_,@function
_Z30warp_striped_to_blocked_kernelIiiLj2560ELj5EEvPT_PT0_: ; @_Z30warp_striped_to_blocked_kernelIiiLj2560ELj5EEvPT_PT0_
; %bb.0:
	s_load_b128 s[0:3], s[0:1], 0x0
	v_mul_u32_u24_e32 v1, 5, v0
	s_mov_b32 s5, 0
	s_mul_i32 s4, s15, 0xa00
	v_lshrrev_b32_e32 v0, 5, v0
	s_lshl_b64 s[4:5], s[4:5], 2
	v_lshlrev_b32_e32 v5, 2, v1
	v_mbcnt_lo_u32_b32 v7, -1, 0
	s_delay_alu instid0(VALU_DEP_3) | instskip(NEXT) | instid1(VALU_DEP_1)
	v_mul_u32_u24_e32 v0, 0xa0, v0
	v_or_b32_e32 v0, v7, v0
	s_delay_alu instid0(VALU_DEP_1)
	v_lshlrev_b32_e32 v0, 2, v0
	s_waitcnt lgkmcnt(0)
	s_add_u32 s0, s0, s4
	s_addc_u32 s1, s1, s5
	s_clause 0x1
	global_load_b128 v[1:4], v5, s[0:1]
	global_load_b32 v6, v5, s[0:1] offset:16
	v_lshl_add_u32 v7, v7, 4, v0
	s_add_u32 s0, s2, s4
	s_addc_u32 s1, s3, s5
	s_waitcnt vmcnt(1)
	ds_store_2addr_b32 v0, v1, v2 offset1:32
	ds_store_2addr_b32 v0, v3, v4 offset0:64 offset1:96
	s_waitcnt vmcnt(0)
	ds_store_b32 v0, v6 offset:512
	; wave barrier
	ds_load_2addr_b32 v[0:1], v7 offset1:1
	ds_load_2addr_b32 v[2:3], v7 offset0:2 offset1:3
	ds_load_b32 v4, v7 offset:16
	s_waitcnt lgkmcnt(1)
	global_store_b128 v5, v[0:3], s[0:1]
	s_waitcnt lgkmcnt(0)
	global_store_b32 v5, v4, s[0:1] offset:16
	s_nop 0
	s_sendmsg sendmsg(MSG_DEALLOC_VGPRS)
	s_endpgm
	.section	.rodata,"a",@progbits
	.p2align	6, 0x0
	.amdhsa_kernel _Z30warp_striped_to_blocked_kernelIiiLj2560ELj5EEvPT_PT0_
		.amdhsa_group_segment_fixed_size 10240
		.amdhsa_private_segment_fixed_size 0
		.amdhsa_kernarg_size 16
		.amdhsa_user_sgpr_count 15
		.amdhsa_user_sgpr_dispatch_ptr 0
		.amdhsa_user_sgpr_queue_ptr 0
		.amdhsa_user_sgpr_kernarg_segment_ptr 1
		.amdhsa_user_sgpr_dispatch_id 0
		.amdhsa_user_sgpr_private_segment_size 0
		.amdhsa_wavefront_size32 1
		.amdhsa_uses_dynamic_stack 0
		.amdhsa_enable_private_segment 0
		.amdhsa_system_sgpr_workgroup_id_x 1
		.amdhsa_system_sgpr_workgroup_id_y 0
		.amdhsa_system_sgpr_workgroup_id_z 0
		.amdhsa_system_sgpr_workgroup_info 0
		.amdhsa_system_vgpr_workitem_id 0
		.amdhsa_next_free_vgpr 8
		.amdhsa_next_free_sgpr 16
		.amdhsa_reserve_vcc 0
		.amdhsa_float_round_mode_32 0
		.amdhsa_float_round_mode_16_64 0
		.amdhsa_float_denorm_mode_32 3
		.amdhsa_float_denorm_mode_16_64 3
		.amdhsa_dx10_clamp 1
		.amdhsa_ieee_mode 1
		.amdhsa_fp16_overflow 0
		.amdhsa_workgroup_processor_mode 1
		.amdhsa_memory_ordered 1
		.amdhsa_forward_progress 0
		.amdhsa_shared_vgpr_count 0
		.amdhsa_exception_fp_ieee_invalid_op 0
		.amdhsa_exception_fp_denorm_src 0
		.amdhsa_exception_fp_ieee_div_zero 0
		.amdhsa_exception_fp_ieee_overflow 0
		.amdhsa_exception_fp_ieee_underflow 0
		.amdhsa_exception_fp_ieee_inexact 0
		.amdhsa_exception_int_div_zero 0
	.end_amdhsa_kernel
	.section	.text._Z30warp_striped_to_blocked_kernelIiiLj2560ELj5EEvPT_PT0_,"axG",@progbits,_Z30warp_striped_to_blocked_kernelIiiLj2560ELj5EEvPT_PT0_,comdat
.Lfunc_end65:
	.size	_Z30warp_striped_to_blocked_kernelIiiLj2560ELj5EEvPT_PT0_, .Lfunc_end65-_Z30warp_striped_to_blocked_kernelIiiLj2560ELj5EEvPT_PT0_
                                        ; -- End function
	.section	.AMDGPU.csdata,"",@progbits
; Kernel info:
; codeLenInByte = 208
; NumSgprs: 16
; NumVgprs: 8
; ScratchSize: 0
; MemoryBound: 0
; FloatMode: 240
; IeeeMode: 1
; LDSByteSize: 10240 bytes/workgroup (compile time only)
; SGPRBlocks: 1
; VGPRBlocks: 0
; NumSGPRsForWavesPerEU: 16
; NumVGPRsForWavesPerEU: 8
; Occupancy: 16
; WaveLimiterHint : 0
; COMPUTE_PGM_RSRC2:SCRATCH_EN: 0
; COMPUTE_PGM_RSRC2:USER_SGPR: 15
; COMPUTE_PGM_RSRC2:TRAP_HANDLER: 0
; COMPUTE_PGM_RSRC2:TGID_X_EN: 1
; COMPUTE_PGM_RSRC2:TGID_Y_EN: 0
; COMPUTE_PGM_RSRC2:TGID_Z_EN: 0
; COMPUTE_PGM_RSRC2:TIDIG_COMP_CNT: 0
	.section	.text._Z30warp_striped_to_blocked_kernelIxxLj1024ELj4EEvPT_PT0_,"axG",@progbits,_Z30warp_striped_to_blocked_kernelIxxLj1024ELj4EEvPT_PT0_,comdat
	.protected	_Z30warp_striped_to_blocked_kernelIxxLj1024ELj4EEvPT_PT0_ ; -- Begin function _Z30warp_striped_to_blocked_kernelIxxLj1024ELj4EEvPT_PT0_
	.globl	_Z30warp_striped_to_blocked_kernelIxxLj1024ELj4EEvPT_PT0_
	.p2align	8
	.type	_Z30warp_striped_to_blocked_kernelIxxLj1024ELj4EEvPT_PT0_,@function
_Z30warp_striped_to_blocked_kernelIxxLj1024ELj4EEvPT_PT0_: ; @_Z30warp_striped_to_blocked_kernelIxxLj1024ELj4EEvPT_PT0_
; %bb.0:
	s_load_b128 s[0:3], s[0:1], 0x0
	s_mov_b32 s5, 0
	s_lshl_b32 s4, s15, 10
	v_lshlrev_b32_e32 v9, 5, v0
	s_lshl_b64 s[4:5], s[4:5], 3
	v_lshlrev_b32_e32 v10, 2, v0
	v_mbcnt_lo_u32_b32 v11, -1, 0
	s_delay_alu instid0(VALU_DEP_2) | instskip(NEXT) | instid1(VALU_DEP_2)
	v_and_b32_e32 v10, 0x780, v10
	v_and_or_b32 v0, 0x1e0, v0, v11
	s_delay_alu instid0(VALU_DEP_2) | instskip(NEXT) | instid1(VALU_DEP_2)
	v_or_b32_e32 v12, v11, v10
	v_lshlrev_b32_e32 v15, 2, v0
	v_lshrrev_b32_e32 v10, 5, v10
	v_bfe_u32 v0, v0, 3, 27
	s_delay_alu instid0(VALU_DEP_4)
	v_or_b32_e32 v13, 64, v12
	s_waitcnt lgkmcnt(0)
	s_add_u32 s0, s0, s4
	s_addc_u32 s1, s1, s5
	s_clause 0x1
	global_load_b128 v[1:4], v9, s[0:1]
	global_load_b128 v[5:8], v9, s[0:1] offset:16
	v_or_b32_e32 v14, 0x60, v12
	v_or_b32_e32 v11, 32, v12
	v_lshrrev_b32_e32 v17, 5, v13
	v_add_lshl_u32 v10, v10, v12, 3
	s_add_u32 s0, s2, s4
	v_lshrrev_b32_e32 v18, 5, v14
	v_lshrrev_b32_e32 v16, 5, v11
	v_add_lshl_u32 v12, v17, v13, 3
	s_addc_u32 s1, s3, s5
	s_delay_alu instid0(VALU_DEP_3)
	v_add_lshl_u32 v13, v18, v14, 3
	v_add_lshl_u32 v14, v0, v15, 3
	;; [unrolled: 1-line block ×3, first 2 shown]
	s_waitcnt vmcnt(1)
	ds_store_b64 v10, v[1:2]
	ds_store_b64 v11, v[3:4]
	s_waitcnt vmcnt(0)
	ds_store_b64 v12, v[5:6]
	ds_store_b64 v13, v[7:8]
	; wave barrier
	ds_load_2addr_b64 v[0:3], v14 offset1:1
	ds_load_2addr_b64 v[4:7], v14 offset0:2 offset1:3
	s_waitcnt lgkmcnt(1)
	global_store_b128 v9, v[0:3], s[0:1]
	s_waitcnt lgkmcnt(0)
	global_store_b128 v9, v[4:7], s[0:1] offset:16
	s_nop 0
	s_sendmsg sendmsg(MSG_DEALLOC_VGPRS)
	s_endpgm
	.section	.rodata,"a",@progbits
	.p2align	6, 0x0
	.amdhsa_kernel _Z30warp_striped_to_blocked_kernelIxxLj1024ELj4EEvPT_PT0_
		.amdhsa_group_segment_fixed_size 8448
		.amdhsa_private_segment_fixed_size 0
		.amdhsa_kernarg_size 16
		.amdhsa_user_sgpr_count 15
		.amdhsa_user_sgpr_dispatch_ptr 0
		.amdhsa_user_sgpr_queue_ptr 0
		.amdhsa_user_sgpr_kernarg_segment_ptr 1
		.amdhsa_user_sgpr_dispatch_id 0
		.amdhsa_user_sgpr_private_segment_size 0
		.amdhsa_wavefront_size32 1
		.amdhsa_uses_dynamic_stack 0
		.amdhsa_enable_private_segment 0
		.amdhsa_system_sgpr_workgroup_id_x 1
		.amdhsa_system_sgpr_workgroup_id_y 0
		.amdhsa_system_sgpr_workgroup_id_z 0
		.amdhsa_system_sgpr_workgroup_info 0
		.amdhsa_system_vgpr_workitem_id 0
		.amdhsa_next_free_vgpr 19
		.amdhsa_next_free_sgpr 16
		.amdhsa_reserve_vcc 0
		.amdhsa_float_round_mode_32 0
		.amdhsa_float_round_mode_16_64 0
		.amdhsa_float_denorm_mode_32 3
		.amdhsa_float_denorm_mode_16_64 3
		.amdhsa_dx10_clamp 1
		.amdhsa_ieee_mode 1
		.amdhsa_fp16_overflow 0
		.amdhsa_workgroup_processor_mode 1
		.amdhsa_memory_ordered 1
		.amdhsa_forward_progress 0
		.amdhsa_shared_vgpr_count 0
		.amdhsa_exception_fp_ieee_invalid_op 0
		.amdhsa_exception_fp_denorm_src 0
		.amdhsa_exception_fp_ieee_div_zero 0
		.amdhsa_exception_fp_ieee_overflow 0
		.amdhsa_exception_fp_ieee_underflow 0
		.amdhsa_exception_fp_ieee_inexact 0
		.amdhsa_exception_int_div_zero 0
	.end_amdhsa_kernel
	.section	.text._Z30warp_striped_to_blocked_kernelIxxLj1024ELj4EEvPT_PT0_,"axG",@progbits,_Z30warp_striped_to_blocked_kernelIxxLj1024ELj4EEvPT_PT0_,comdat
.Lfunc_end66:
	.size	_Z30warp_striped_to_blocked_kernelIxxLj1024ELj4EEvPT_PT0_, .Lfunc_end66-_Z30warp_striped_to_blocked_kernelIxxLj1024ELj4EEvPT_PT0_
                                        ; -- End function
	.section	.AMDGPU.csdata,"",@progbits
; Kernel info:
; codeLenInByte = 292
; NumSgprs: 16
; NumVgprs: 19
; ScratchSize: 0
; MemoryBound: 0
; FloatMode: 240
; IeeeMode: 1
; LDSByteSize: 8448 bytes/workgroup (compile time only)
; SGPRBlocks: 1
; VGPRBlocks: 2
; NumSGPRsForWavesPerEU: 16
; NumVGPRsForWavesPerEU: 19
; Occupancy: 16
; WaveLimiterHint : 0
; COMPUTE_PGM_RSRC2:SCRATCH_EN: 0
; COMPUTE_PGM_RSRC2:USER_SGPR: 15
; COMPUTE_PGM_RSRC2:TRAP_HANDLER: 0
; COMPUTE_PGM_RSRC2:TGID_X_EN: 1
; COMPUTE_PGM_RSRC2:TGID_Y_EN: 0
; COMPUTE_PGM_RSRC2:TGID_Z_EN: 0
; COMPUTE_PGM_RSRC2:TIDIG_COMP_CNT: 0
	.section	.text._Z30warp_striped_to_blocked_kernelIiiLj128ELj2EEvPT_PT0_,"axG",@progbits,_Z30warp_striped_to_blocked_kernelIiiLj128ELj2EEvPT_PT0_,comdat
	.protected	_Z30warp_striped_to_blocked_kernelIiiLj128ELj2EEvPT_PT0_ ; -- Begin function _Z30warp_striped_to_blocked_kernelIiiLj128ELj2EEvPT_PT0_
	.globl	_Z30warp_striped_to_blocked_kernelIiiLj128ELj2EEvPT_PT0_
	.p2align	8
	.type	_Z30warp_striped_to_blocked_kernelIiiLj128ELj2EEvPT_PT0_,@function
_Z30warp_striped_to_blocked_kernelIiiLj128ELj2EEvPT_PT0_: ; @_Z30warp_striped_to_blocked_kernelIiiLj128ELj2EEvPT_PT0_
; %bb.0:
	s_load_b128 s[0:3], s[0:1], 0x0
	s_mov_b32 s5, 0
	s_lshl_b32 s4, s15, 7
	v_lshlrev_b32_e32 v3, 3, v0
	s_lshl_b64 s[4:5], s[4:5], 2
	v_lshlrev_b32_e32 v4, 1, v0
	v_mbcnt_lo_u32_b32 v5, -1, 0
	s_delay_alu instid0(VALU_DEP_2) | instskip(NEXT) | instid1(VALU_DEP_2)
	v_and_b32_e32 v4, 0x3c0, v4
	v_and_or_b32 v0, 0x1e0, v0, v5
	s_delay_alu instid0(VALU_DEP_2) | instskip(SKIP_1) | instid1(VALU_DEP_3)
	v_or_b32_e32 v6, v5, v4
	v_lshrrev_b32_e32 v4, 5, v4
	v_lshlrev_b32_e32 v8, 1, v0
	v_bfe_u32 v0, v0, 4, 27
	s_delay_alu instid0(VALU_DEP_4)
	v_or_b32_e32 v7, 32, v6
	s_waitcnt lgkmcnt(0)
	s_add_u32 s0, s0, s4
	s_addc_u32 s1, s1, s5
	v_add_lshl_u32 v4, v4, v6, 2
	global_load_b64 v[1:2], v3, s[0:1]
	v_lshrrev_b32_e32 v5, 5, v7
	v_add_lshl_u32 v0, v0, v8, 2
	s_add_u32 s0, s2, s4
	s_addc_u32 s1, s3, s5
	s_delay_alu instid0(VALU_DEP_2)
	v_add_lshl_u32 v5, v5, v7, 2
	s_waitcnt vmcnt(0)
	ds_store_b32 v4, v1
	ds_store_b32 v5, v2
	; wave barrier
	ds_load_2addr_b32 v[0:1], v0 offset1:1
	s_waitcnt lgkmcnt(0)
	global_store_b64 v3, v[0:1], s[0:1]
	s_nop 0
	s_sendmsg sendmsg(MSG_DEALLOC_VGPRS)
	s_endpgm
	.section	.rodata,"a",@progbits
	.p2align	6, 0x0
	.amdhsa_kernel _Z30warp_striped_to_blocked_kernelIiiLj128ELj2EEvPT_PT0_
		.amdhsa_group_segment_fixed_size 528
		.amdhsa_private_segment_fixed_size 0
		.amdhsa_kernarg_size 16
		.amdhsa_user_sgpr_count 15
		.amdhsa_user_sgpr_dispatch_ptr 0
		.amdhsa_user_sgpr_queue_ptr 0
		.amdhsa_user_sgpr_kernarg_segment_ptr 1
		.amdhsa_user_sgpr_dispatch_id 0
		.amdhsa_user_sgpr_private_segment_size 0
		.amdhsa_wavefront_size32 1
		.amdhsa_uses_dynamic_stack 0
		.amdhsa_enable_private_segment 0
		.amdhsa_system_sgpr_workgroup_id_x 1
		.amdhsa_system_sgpr_workgroup_id_y 0
		.amdhsa_system_sgpr_workgroup_id_z 0
		.amdhsa_system_sgpr_workgroup_info 0
		.amdhsa_system_vgpr_workitem_id 0
		.amdhsa_next_free_vgpr 9
		.amdhsa_next_free_sgpr 16
		.amdhsa_reserve_vcc 0
		.amdhsa_float_round_mode_32 0
		.amdhsa_float_round_mode_16_64 0
		.amdhsa_float_denorm_mode_32 3
		.amdhsa_float_denorm_mode_16_64 3
		.amdhsa_dx10_clamp 1
		.amdhsa_ieee_mode 1
		.amdhsa_fp16_overflow 0
		.amdhsa_workgroup_processor_mode 1
		.amdhsa_memory_ordered 1
		.amdhsa_forward_progress 0
		.amdhsa_shared_vgpr_count 0
		.amdhsa_exception_fp_ieee_invalid_op 0
		.amdhsa_exception_fp_denorm_src 0
		.amdhsa_exception_fp_ieee_div_zero 0
		.amdhsa_exception_fp_ieee_overflow 0
		.amdhsa_exception_fp_ieee_underflow 0
		.amdhsa_exception_fp_ieee_inexact 0
		.amdhsa_exception_int_div_zero 0
	.end_amdhsa_kernel
	.section	.text._Z30warp_striped_to_blocked_kernelIiiLj128ELj2EEvPT_PT0_,"axG",@progbits,_Z30warp_striped_to_blocked_kernelIiiLj128ELj2EEvPT_PT0_,comdat
.Lfunc_end67:
	.size	_Z30warp_striped_to_blocked_kernelIiiLj128ELj2EEvPT_PT0_, .Lfunc_end67-_Z30warp_striped_to_blocked_kernelIiiLj128ELj2EEvPT_PT0_
                                        ; -- End function
	.section	.AMDGPU.csdata,"",@progbits
; Kernel info:
; codeLenInByte = 204
; NumSgprs: 16
; NumVgprs: 9
; ScratchSize: 0
; MemoryBound: 0
; FloatMode: 240
; IeeeMode: 1
; LDSByteSize: 528 bytes/workgroup (compile time only)
; SGPRBlocks: 1
; VGPRBlocks: 1
; NumSGPRsForWavesPerEU: 16
; NumVGPRsForWavesPerEU: 9
; Occupancy: 16
; WaveLimiterHint : 0
; COMPUTE_PGM_RSRC2:SCRATCH_EN: 0
; COMPUTE_PGM_RSRC2:USER_SGPR: 15
; COMPUTE_PGM_RSRC2:TRAP_HANDLER: 0
; COMPUTE_PGM_RSRC2:TGID_X_EN: 1
; COMPUTE_PGM_RSRC2:TGID_Y_EN: 0
; COMPUTE_PGM_RSRC2:TGID_Z_EN: 0
; COMPUTE_PGM_RSRC2:TIDIG_COMP_CNT: 0
	.section	.text._Z30warp_striped_to_blocked_kernelIxxLj512ELj1EEvPT_PT0_,"axG",@progbits,_Z30warp_striped_to_blocked_kernelIxxLj512ELj1EEvPT_PT0_,comdat
	.protected	_Z30warp_striped_to_blocked_kernelIxxLj512ELj1EEvPT_PT0_ ; -- Begin function _Z30warp_striped_to_blocked_kernelIxxLj512ELj1EEvPT_PT0_
	.globl	_Z30warp_striped_to_blocked_kernelIxxLj512ELj1EEvPT_PT0_
	.p2align	8
	.type	_Z30warp_striped_to_blocked_kernelIxxLj512ELj1EEvPT_PT0_,@function
_Z30warp_striped_to_blocked_kernelIxxLj512ELj1EEvPT_PT0_: ; @_Z30warp_striped_to_blocked_kernelIxxLj512ELj1EEvPT_PT0_
; %bb.0:
	s_load_b128 s[0:3], s[0:1], 0x0
	s_mov_b32 s5, 0
	s_lshl_b32 s4, s15, 9
	v_lshlrev_b32_e32 v3, 3, v0
	s_lshl_b64 s[4:5], s[4:5], 3
	v_mbcnt_lo_u32_b32 v4, -1, 0
	s_delay_alu instid0(VALU_DEP_1) | instskip(NEXT) | instid1(VALU_DEP_1)
	v_and_or_b32 v0, 0x1e0, v0, v4
	v_lshlrev_b32_e32 v0, 3, v0
	s_waitcnt lgkmcnt(0)
	s_add_u32 s0, s0, s4
	s_addc_u32 s1, s1, s5
	global_load_b64 v[1:2], v3, s[0:1]
	s_add_u32 s0, s2, s4
	s_addc_u32 s1, s3, s5
	s_waitcnt vmcnt(0)
	ds_store_b64 v0, v[1:2]
	; wave barrier
	ds_load_b64 v[0:1], v0
	s_waitcnt lgkmcnt(0)
	global_store_b64 v3, v[0:1], s[0:1]
	s_nop 0
	s_sendmsg sendmsg(MSG_DEALLOC_VGPRS)
	s_endpgm
	.section	.rodata,"a",@progbits
	.p2align	6, 0x0
	.amdhsa_kernel _Z30warp_striped_to_blocked_kernelIxxLj512ELj1EEvPT_PT0_
		.amdhsa_group_segment_fixed_size 4096
		.amdhsa_private_segment_fixed_size 0
		.amdhsa_kernarg_size 16
		.amdhsa_user_sgpr_count 15
		.amdhsa_user_sgpr_dispatch_ptr 0
		.amdhsa_user_sgpr_queue_ptr 0
		.amdhsa_user_sgpr_kernarg_segment_ptr 1
		.amdhsa_user_sgpr_dispatch_id 0
		.amdhsa_user_sgpr_private_segment_size 0
		.amdhsa_wavefront_size32 1
		.amdhsa_uses_dynamic_stack 0
		.amdhsa_enable_private_segment 0
		.amdhsa_system_sgpr_workgroup_id_x 1
		.amdhsa_system_sgpr_workgroup_id_y 0
		.amdhsa_system_sgpr_workgroup_id_z 0
		.amdhsa_system_sgpr_workgroup_info 0
		.amdhsa_system_vgpr_workitem_id 0
		.amdhsa_next_free_vgpr 5
		.amdhsa_next_free_sgpr 16
		.amdhsa_reserve_vcc 0
		.amdhsa_float_round_mode_32 0
		.amdhsa_float_round_mode_16_64 0
		.amdhsa_float_denorm_mode_32 3
		.amdhsa_float_denorm_mode_16_64 3
		.amdhsa_dx10_clamp 1
		.amdhsa_ieee_mode 1
		.amdhsa_fp16_overflow 0
		.amdhsa_workgroup_processor_mode 1
		.amdhsa_memory_ordered 1
		.amdhsa_forward_progress 0
		.amdhsa_shared_vgpr_count 0
		.amdhsa_exception_fp_ieee_invalid_op 0
		.amdhsa_exception_fp_denorm_src 0
		.amdhsa_exception_fp_ieee_div_zero 0
		.amdhsa_exception_fp_ieee_overflow 0
		.amdhsa_exception_fp_ieee_underflow 0
		.amdhsa_exception_fp_ieee_inexact 0
		.amdhsa_exception_int_div_zero 0
	.end_amdhsa_kernel
	.section	.text._Z30warp_striped_to_blocked_kernelIxxLj512ELj1EEvPT_PT0_,"axG",@progbits,_Z30warp_striped_to_blocked_kernelIxxLj512ELj1EEvPT_PT0_,comdat
.Lfunc_end68:
	.size	_Z30warp_striped_to_blocked_kernelIxxLj512ELj1EEvPT_PT0_, .Lfunc_end68-_Z30warp_striped_to_blocked_kernelIxxLj512ELj1EEvPT_PT0_
                                        ; -- End function
	.section	.AMDGPU.csdata,"",@progbits
; Kernel info:
; codeLenInByte = 124
; NumSgprs: 16
; NumVgprs: 5
; ScratchSize: 0
; MemoryBound: 0
; FloatMode: 240
; IeeeMode: 1
; LDSByteSize: 4096 bytes/workgroup (compile time only)
; SGPRBlocks: 1
; VGPRBlocks: 0
; NumSGPRsForWavesPerEU: 16
; NumVGPRsForWavesPerEU: 5
; Occupancy: 16
; WaveLimiterHint : 0
; COMPUTE_PGM_RSRC2:SCRATCH_EN: 0
; COMPUTE_PGM_RSRC2:USER_SGPR: 15
; COMPUTE_PGM_RSRC2:TRAP_HANDLER: 0
; COMPUTE_PGM_RSRC2:TGID_X_EN: 1
; COMPUTE_PGM_RSRC2:TGID_Y_EN: 0
; COMPUTE_PGM_RSRC2:TGID_Z_EN: 0
; COMPUTE_PGM_RSRC2:TIDIG_COMP_CNT: 0
	.section	.text._Z30warp_striped_to_blocked_kernelIs5dummyIiELj256ELj1EEvPT_PT0_,"axG",@progbits,_Z30warp_striped_to_blocked_kernelIs5dummyIiELj256ELj1EEvPT_PT0_,comdat
	.protected	_Z30warp_striped_to_blocked_kernelIs5dummyIiELj256ELj1EEvPT_PT0_ ; -- Begin function _Z30warp_striped_to_blocked_kernelIs5dummyIiELj256ELj1EEvPT_PT0_
	.globl	_Z30warp_striped_to_blocked_kernelIs5dummyIiELj256ELj1EEvPT_PT0_
	.p2align	8
	.type	_Z30warp_striped_to_blocked_kernelIs5dummyIiELj256ELj1EEvPT_PT0_,@function
_Z30warp_striped_to_blocked_kernelIs5dummyIiELj256ELj1EEvPT_PT0_: ; @_Z30warp_striped_to_blocked_kernelIs5dummyIiELj256ELj1EEvPT_PT0_
; %bb.0:
	s_load_b128 s[0:3], s[0:1], 0x0
	s_mov_b32 s5, 0
	s_lshl_b32 s4, s15, 8
	v_lshlrev_b32_e32 v1, 1, v0
	s_lshl_b64 s[6:7], s[4:5], 1
	v_mbcnt_lo_u32_b32 v2, -1, 0
	s_delay_alu instid0(VALU_DEP_1) | instskip(SKIP_1) | instid1(VALU_DEP_2)
	v_and_or_b32 v2, 0x1e0, v0, v2
	v_lshlrev_b32_e32 v0, 3, v0
	v_lshlrev_b32_e32 v2, 1, v2
	s_waitcnt lgkmcnt(0)
	s_add_u32 s0, s0, s6
	s_addc_u32 s1, s1, s7
	global_load_u16 v1, v1, s[0:1]
	s_lshl_b64 s[0:1], s[4:5], 3
	s_delay_alu instid0(SALU_CYCLE_1)
	s_add_u32 s0, s2, s0
	s_addc_u32 s1, s3, s1
	s_waitcnt vmcnt(0)
	ds_store_b16 v2, v1
	; wave barrier
	ds_load_i16 v1, v2
	s_waitcnt lgkmcnt(0)
	v_lshlrev_b32_e32 v2, 1, v1
	v_add_nc_u32_e32 v1, 1, v1
	global_store_b64 v0, v[1:2], s[0:1]
	s_nop 0
	s_sendmsg sendmsg(MSG_DEALLOC_VGPRS)
	s_endpgm
	.section	.rodata,"a",@progbits
	.p2align	6, 0x0
	.amdhsa_kernel _Z30warp_striped_to_blocked_kernelIs5dummyIiELj256ELj1EEvPT_PT0_
		.amdhsa_group_segment_fixed_size 512
		.amdhsa_private_segment_fixed_size 0
		.amdhsa_kernarg_size 16
		.amdhsa_user_sgpr_count 15
		.amdhsa_user_sgpr_dispatch_ptr 0
		.amdhsa_user_sgpr_queue_ptr 0
		.amdhsa_user_sgpr_kernarg_segment_ptr 1
		.amdhsa_user_sgpr_dispatch_id 0
		.amdhsa_user_sgpr_private_segment_size 0
		.amdhsa_wavefront_size32 1
		.amdhsa_uses_dynamic_stack 0
		.amdhsa_enable_private_segment 0
		.amdhsa_system_sgpr_workgroup_id_x 1
		.amdhsa_system_sgpr_workgroup_id_y 0
		.amdhsa_system_sgpr_workgroup_id_z 0
		.amdhsa_system_sgpr_workgroup_info 0
		.amdhsa_system_vgpr_workitem_id 0
		.amdhsa_next_free_vgpr 3
		.amdhsa_next_free_sgpr 16
		.amdhsa_reserve_vcc 0
		.amdhsa_float_round_mode_32 0
		.amdhsa_float_round_mode_16_64 0
		.amdhsa_float_denorm_mode_32 3
		.amdhsa_float_denorm_mode_16_64 3
		.amdhsa_dx10_clamp 1
		.amdhsa_ieee_mode 1
		.amdhsa_fp16_overflow 0
		.amdhsa_workgroup_processor_mode 1
		.amdhsa_memory_ordered 1
		.amdhsa_forward_progress 0
		.amdhsa_shared_vgpr_count 0
		.amdhsa_exception_fp_ieee_invalid_op 0
		.amdhsa_exception_fp_denorm_src 0
		.amdhsa_exception_fp_ieee_div_zero 0
		.amdhsa_exception_fp_ieee_overflow 0
		.amdhsa_exception_fp_ieee_underflow 0
		.amdhsa_exception_fp_ieee_inexact 0
		.amdhsa_exception_int_div_zero 0
	.end_amdhsa_kernel
	.section	.text._Z30warp_striped_to_blocked_kernelIs5dummyIiELj256ELj1EEvPT_PT0_,"axG",@progbits,_Z30warp_striped_to_blocked_kernelIs5dummyIiELj256ELj1EEvPT_PT0_,comdat
.Lfunc_end69:
	.size	_Z30warp_striped_to_blocked_kernelIs5dummyIiELj256ELj1EEvPT_PT0_, .Lfunc_end69-_Z30warp_striped_to_blocked_kernelIs5dummyIiELj256ELj1EEvPT_PT0_
                                        ; -- End function
	.section	.AMDGPU.csdata,"",@progbits
; Kernel info:
; codeLenInByte = 144
; NumSgprs: 16
; NumVgprs: 3
; ScratchSize: 0
; MemoryBound: 0
; FloatMode: 240
; IeeeMode: 1
; LDSByteSize: 512 bytes/workgroup (compile time only)
; SGPRBlocks: 1
; VGPRBlocks: 0
; NumSGPRsForWavesPerEU: 16
; NumVGPRsForWavesPerEU: 3
; Occupancy: 16
; WaveLimiterHint : 0
; COMPUTE_PGM_RSRC2:SCRATCH_EN: 0
; COMPUTE_PGM_RSRC2:USER_SGPR: 15
; COMPUTE_PGM_RSRC2:TRAP_HANDLER: 0
; COMPUTE_PGM_RSRC2:TGID_X_EN: 1
; COMPUTE_PGM_RSRC2:TGID_Y_EN: 0
; COMPUTE_PGM_RSRC2:TGID_Z_EN: 0
; COMPUTE_PGM_RSRC2:TIDIG_COMP_CNT: 0
	.section	.text._Z30warp_striped_to_blocked_kernelIyyLj128ELj1EEvPT_PT0_,"axG",@progbits,_Z30warp_striped_to_blocked_kernelIyyLj128ELj1EEvPT_PT0_,comdat
	.protected	_Z30warp_striped_to_blocked_kernelIyyLj128ELj1EEvPT_PT0_ ; -- Begin function _Z30warp_striped_to_blocked_kernelIyyLj128ELj1EEvPT_PT0_
	.globl	_Z30warp_striped_to_blocked_kernelIyyLj128ELj1EEvPT_PT0_
	.p2align	8
	.type	_Z30warp_striped_to_blocked_kernelIyyLj128ELj1EEvPT_PT0_,@function
_Z30warp_striped_to_blocked_kernelIyyLj128ELj1EEvPT_PT0_: ; @_Z30warp_striped_to_blocked_kernelIyyLj128ELj1EEvPT_PT0_
; %bb.0:
	s_load_b128 s[0:3], s[0:1], 0x0
	s_mov_b32 s5, 0
	s_lshl_b32 s4, s15, 7
	v_lshlrev_b32_e32 v3, 3, v0
	s_lshl_b64 s[4:5], s[4:5], 3
	v_mbcnt_lo_u32_b32 v4, -1, 0
	s_delay_alu instid0(VALU_DEP_1) | instskip(NEXT) | instid1(VALU_DEP_1)
	v_and_or_b32 v0, 0x1e0, v0, v4
	v_lshlrev_b32_e32 v0, 3, v0
	s_waitcnt lgkmcnt(0)
	s_add_u32 s0, s0, s4
	s_addc_u32 s1, s1, s5
	global_load_b64 v[1:2], v3, s[0:1]
	s_add_u32 s0, s2, s4
	s_addc_u32 s1, s3, s5
	s_waitcnt vmcnt(0)
	ds_store_b64 v0, v[1:2]
	; wave barrier
	ds_load_b64 v[0:1], v0
	s_waitcnt lgkmcnt(0)
	global_store_b64 v3, v[0:1], s[0:1]
	s_nop 0
	s_sendmsg sendmsg(MSG_DEALLOC_VGPRS)
	s_endpgm
	.section	.rodata,"a",@progbits
	.p2align	6, 0x0
	.amdhsa_kernel _Z30warp_striped_to_blocked_kernelIyyLj128ELj1EEvPT_PT0_
		.amdhsa_group_segment_fixed_size 1024
		.amdhsa_private_segment_fixed_size 0
		.amdhsa_kernarg_size 16
		.amdhsa_user_sgpr_count 15
		.amdhsa_user_sgpr_dispatch_ptr 0
		.amdhsa_user_sgpr_queue_ptr 0
		.amdhsa_user_sgpr_kernarg_segment_ptr 1
		.amdhsa_user_sgpr_dispatch_id 0
		.amdhsa_user_sgpr_private_segment_size 0
		.amdhsa_wavefront_size32 1
		.amdhsa_uses_dynamic_stack 0
		.amdhsa_enable_private_segment 0
		.amdhsa_system_sgpr_workgroup_id_x 1
		.amdhsa_system_sgpr_workgroup_id_y 0
		.amdhsa_system_sgpr_workgroup_id_z 0
		.amdhsa_system_sgpr_workgroup_info 0
		.amdhsa_system_vgpr_workitem_id 0
		.amdhsa_next_free_vgpr 5
		.amdhsa_next_free_sgpr 16
		.amdhsa_reserve_vcc 0
		.amdhsa_float_round_mode_32 0
		.amdhsa_float_round_mode_16_64 0
		.amdhsa_float_denorm_mode_32 3
		.amdhsa_float_denorm_mode_16_64 3
		.amdhsa_dx10_clamp 1
		.amdhsa_ieee_mode 1
		.amdhsa_fp16_overflow 0
		.amdhsa_workgroup_processor_mode 1
		.amdhsa_memory_ordered 1
		.amdhsa_forward_progress 0
		.amdhsa_shared_vgpr_count 0
		.amdhsa_exception_fp_ieee_invalid_op 0
		.amdhsa_exception_fp_denorm_src 0
		.amdhsa_exception_fp_ieee_div_zero 0
		.amdhsa_exception_fp_ieee_overflow 0
		.amdhsa_exception_fp_ieee_underflow 0
		.amdhsa_exception_fp_ieee_inexact 0
		.amdhsa_exception_int_div_zero 0
	.end_amdhsa_kernel
	.section	.text._Z30warp_striped_to_blocked_kernelIyyLj128ELj1EEvPT_PT0_,"axG",@progbits,_Z30warp_striped_to_blocked_kernelIyyLj128ELj1EEvPT_PT0_,comdat
.Lfunc_end70:
	.size	_Z30warp_striped_to_blocked_kernelIyyLj128ELj1EEvPT_PT0_, .Lfunc_end70-_Z30warp_striped_to_blocked_kernelIyyLj128ELj1EEvPT_PT0_
                                        ; -- End function
	.section	.AMDGPU.csdata,"",@progbits
; Kernel info:
; codeLenInByte = 124
; NumSgprs: 16
; NumVgprs: 5
; ScratchSize: 0
; MemoryBound: 0
; FloatMode: 240
; IeeeMode: 1
; LDSByteSize: 1024 bytes/workgroup (compile time only)
; SGPRBlocks: 1
; VGPRBlocks: 0
; NumSGPRsForWavesPerEU: 16
; NumVGPRsForWavesPerEU: 5
; Occupancy: 16
; WaveLimiterHint : 0
; COMPUTE_PGM_RSRC2:SCRATCH_EN: 0
; COMPUTE_PGM_RSRC2:USER_SGPR: 15
; COMPUTE_PGM_RSRC2:TRAP_HANDLER: 0
; COMPUTE_PGM_RSRC2:TGID_X_EN: 1
; COMPUTE_PGM_RSRC2:TGID_Y_EN: 0
; COMPUTE_PGM_RSRC2:TGID_Z_EN: 0
; COMPUTE_PGM_RSRC2:TIDIG_COMP_CNT: 0
	.section	.text._Z30warp_striped_to_blocked_kernelIixLj64ELj1EEvPT_PT0_,"axG",@progbits,_Z30warp_striped_to_blocked_kernelIixLj64ELj1EEvPT_PT0_,comdat
	.protected	_Z30warp_striped_to_blocked_kernelIixLj64ELj1EEvPT_PT0_ ; -- Begin function _Z30warp_striped_to_blocked_kernelIixLj64ELj1EEvPT_PT0_
	.globl	_Z30warp_striped_to_blocked_kernelIixLj64ELj1EEvPT_PT0_
	.p2align	8
	.type	_Z30warp_striped_to_blocked_kernelIixLj64ELj1EEvPT_PT0_,@function
_Z30warp_striped_to_blocked_kernelIixLj64ELj1EEvPT_PT0_: ; @_Z30warp_striped_to_blocked_kernelIixLj64ELj1EEvPT_PT0_
; %bb.0:
	s_load_b128 s[0:3], s[0:1], 0x0
	s_mov_b32 s5, 0
	s_lshl_b32 s4, s15, 6
	v_lshlrev_b32_e32 v1, 2, v0
	s_lshl_b64 s[6:7], s[4:5], 2
	v_mbcnt_lo_u32_b32 v2, -1, 0
	s_delay_alu instid0(VALU_DEP_1) | instskip(SKIP_1) | instid1(VALU_DEP_2)
	v_and_or_b32 v2, 0x1e0, v0, v2
	v_lshlrev_b32_e32 v0, 3, v0
	v_lshlrev_b32_e32 v2, 2, v2
	s_waitcnt lgkmcnt(0)
	s_add_u32 s0, s0, s6
	s_addc_u32 s1, s1, s7
	global_load_b32 v1, v1, s[0:1]
	s_lshl_b64 s[0:1], s[4:5], 3
	s_delay_alu instid0(SALU_CYCLE_1)
	s_add_u32 s0, s2, s0
	s_addc_u32 s1, s3, s1
	s_waitcnt vmcnt(0)
	ds_store_b32 v2, v1
	; wave barrier
	ds_load_b32 v1, v2
	s_waitcnt lgkmcnt(0)
	v_ashrrev_i32_e32 v2, 31, v1
	global_store_b64 v0, v[1:2], s[0:1]
	s_nop 0
	s_sendmsg sendmsg(MSG_DEALLOC_VGPRS)
	s_endpgm
	.section	.rodata,"a",@progbits
	.p2align	6, 0x0
	.amdhsa_kernel _Z30warp_striped_to_blocked_kernelIixLj64ELj1EEvPT_PT0_
		.amdhsa_group_segment_fixed_size 256
		.amdhsa_private_segment_fixed_size 0
		.amdhsa_kernarg_size 16
		.amdhsa_user_sgpr_count 15
		.amdhsa_user_sgpr_dispatch_ptr 0
		.amdhsa_user_sgpr_queue_ptr 0
		.amdhsa_user_sgpr_kernarg_segment_ptr 1
		.amdhsa_user_sgpr_dispatch_id 0
		.amdhsa_user_sgpr_private_segment_size 0
		.amdhsa_wavefront_size32 1
		.amdhsa_uses_dynamic_stack 0
		.amdhsa_enable_private_segment 0
		.amdhsa_system_sgpr_workgroup_id_x 1
		.amdhsa_system_sgpr_workgroup_id_y 0
		.amdhsa_system_sgpr_workgroup_id_z 0
		.amdhsa_system_sgpr_workgroup_info 0
		.amdhsa_system_vgpr_workitem_id 0
		.amdhsa_next_free_vgpr 3
		.amdhsa_next_free_sgpr 16
		.amdhsa_reserve_vcc 0
		.amdhsa_float_round_mode_32 0
		.amdhsa_float_round_mode_16_64 0
		.amdhsa_float_denorm_mode_32 3
		.amdhsa_float_denorm_mode_16_64 3
		.amdhsa_dx10_clamp 1
		.amdhsa_ieee_mode 1
		.amdhsa_fp16_overflow 0
		.amdhsa_workgroup_processor_mode 1
		.amdhsa_memory_ordered 1
		.amdhsa_forward_progress 0
		.amdhsa_shared_vgpr_count 0
		.amdhsa_exception_fp_ieee_invalid_op 0
		.amdhsa_exception_fp_denorm_src 0
		.amdhsa_exception_fp_ieee_div_zero 0
		.amdhsa_exception_fp_ieee_overflow 0
		.amdhsa_exception_fp_ieee_underflow 0
		.amdhsa_exception_fp_ieee_inexact 0
		.amdhsa_exception_int_div_zero 0
	.end_amdhsa_kernel
	.section	.text._Z30warp_striped_to_blocked_kernelIixLj64ELj1EEvPT_PT0_,"axG",@progbits,_Z30warp_striped_to_blocked_kernelIixLj64ELj1EEvPT_PT0_,comdat
.Lfunc_end71:
	.size	_Z30warp_striped_to_blocked_kernelIixLj64ELj1EEvPT_PT0_, .Lfunc_end71-_Z30warp_striped_to_blocked_kernelIixLj64ELj1EEvPT_PT0_
                                        ; -- End function
	.section	.AMDGPU.csdata,"",@progbits
; Kernel info:
; codeLenInByte = 140
; NumSgprs: 16
; NumVgprs: 3
; ScratchSize: 0
; MemoryBound: 0
; FloatMode: 240
; IeeeMode: 1
; LDSByteSize: 256 bytes/workgroup (compile time only)
; SGPRBlocks: 1
; VGPRBlocks: 0
; NumSGPRsForWavesPerEU: 16
; NumVGPRsForWavesPerEU: 3
; Occupancy: 16
; WaveLimiterHint : 0
; COMPUTE_PGM_RSRC2:SCRATCH_EN: 0
; COMPUTE_PGM_RSRC2:USER_SGPR: 15
; COMPUTE_PGM_RSRC2:TRAP_HANDLER: 0
; COMPUTE_PGM_RSRC2:TGID_X_EN: 1
; COMPUTE_PGM_RSRC2:TGID_Y_EN: 0
; COMPUTE_PGM_RSRC2:TGID_Z_EN: 0
; COMPUTE_PGM_RSRC2:TIDIG_COMP_CNT: 0
	.section	.text._Z30warp_striped_to_blocked_kernelI6__halfS0_Lj512ELj4EEvPT_PT0_,"axG",@progbits,_Z30warp_striped_to_blocked_kernelI6__halfS0_Lj512ELj4EEvPT_PT0_,comdat
	.protected	_Z30warp_striped_to_blocked_kernelI6__halfS0_Lj512ELj4EEvPT_PT0_ ; -- Begin function _Z30warp_striped_to_blocked_kernelI6__halfS0_Lj512ELj4EEvPT_PT0_
	.globl	_Z30warp_striped_to_blocked_kernelI6__halfS0_Lj512ELj4EEvPT_PT0_
	.p2align	8
	.type	_Z30warp_striped_to_blocked_kernelI6__halfS0_Lj512ELj4EEvPT_PT0_,@function
_Z30warp_striped_to_blocked_kernelI6__halfS0_Lj512ELj4EEvPT_PT0_: ; @_Z30warp_striped_to_blocked_kernelI6__halfS0_Lj512ELj4EEvPT_PT0_
; %bb.0:
	s_load_b128 s[0:3], s[0:1], 0x0
	s_mov_b32 s5, 0
	s_lshl_b32 s4, s15, 9
	v_lshlrev_b32_e32 v3, 3, v0
	s_lshl_b64 s[4:5], s[4:5], 1
	v_lshlrev_b32_e32 v4, 2, v0
	v_mbcnt_lo_u32_b32 v5, -1, 0
	s_delay_alu instid0(VALU_DEP_2) | instskip(NEXT) | instid1(VALU_DEP_2)
	v_and_b32_e32 v4, 0x780, v4
	v_and_or_b32 v0, 0x1e0, v0, v5
	s_delay_alu instid0(VALU_DEP_2) | instskip(NEXT) | instid1(VALU_DEP_2)
	v_or_b32_e32 v6, v5, v4
	v_lshrrev_b32_e32 v9, 3, v0
	v_lshrrev_b32_e32 v4, 5, v4
	v_lshlrev_b32_e32 v0, 2, v0
	s_delay_alu instid0(VALU_DEP_4)
	v_or_b32_e32 v7, 0x60, v6
	s_waitcnt lgkmcnt(0)
	s_add_u32 s0, s0, s4
	s_addc_u32 s1, s1, s5
	v_or_b32_e32 v5, 64, v6
	global_load_b64 v[1:2], v3, s[0:1]
	v_lshrrev_b32_e32 v8, 5, v7
	v_and_b32_e32 v9, 62, v9
	v_add_lshl_u32 v4, v4, v6, 1
	v_lshrrev_b32_e32 v10, 5, v5
	s_add_u32 s0, s2, s4
	v_and_b32_e32 v8, 62, v8
	v_add_lshl_u32 v0, v9, v0, 1
	s_addc_u32 s1, s3, s5
	v_add_lshl_u32 v5, v10, v5, 1
	s_delay_alu instid0(VALU_DEP_3)
	v_add_lshl_u32 v6, v8, v7, 1
	s_waitcnt vmcnt(0)
	ds_store_b16 v4, v1
	ds_store_b16_d16_hi v4, v1 offset:64
	ds_store_b16 v5, v2
	ds_store_b16_d16_hi v6, v2
	; wave barrier
	ds_load_b64 v[0:1], v0
	s_waitcnt lgkmcnt(0)
	global_store_b64 v3, v[0:1], s[0:1]
	s_nop 0
	s_sendmsg sendmsg(MSG_DEALLOC_VGPRS)
	s_endpgm
	.section	.rodata,"a",@progbits
	.p2align	6, 0x0
	.amdhsa_kernel _Z30warp_striped_to_blocked_kernelI6__halfS0_Lj512ELj4EEvPT_PT0_
		.amdhsa_group_segment_fixed_size 1056
		.amdhsa_private_segment_fixed_size 0
		.amdhsa_kernarg_size 16
		.amdhsa_user_sgpr_count 15
		.amdhsa_user_sgpr_dispatch_ptr 0
		.amdhsa_user_sgpr_queue_ptr 0
		.amdhsa_user_sgpr_kernarg_segment_ptr 1
		.amdhsa_user_sgpr_dispatch_id 0
		.amdhsa_user_sgpr_private_segment_size 0
		.amdhsa_wavefront_size32 1
		.amdhsa_uses_dynamic_stack 0
		.amdhsa_enable_private_segment 0
		.amdhsa_system_sgpr_workgroup_id_x 1
		.amdhsa_system_sgpr_workgroup_id_y 0
		.amdhsa_system_sgpr_workgroup_id_z 0
		.amdhsa_system_sgpr_workgroup_info 0
		.amdhsa_system_vgpr_workitem_id 0
		.amdhsa_next_free_vgpr 11
		.amdhsa_next_free_sgpr 16
		.amdhsa_reserve_vcc 0
		.amdhsa_float_round_mode_32 0
		.amdhsa_float_round_mode_16_64 0
		.amdhsa_float_denorm_mode_32 3
		.amdhsa_float_denorm_mode_16_64 3
		.amdhsa_dx10_clamp 1
		.amdhsa_ieee_mode 1
		.amdhsa_fp16_overflow 0
		.amdhsa_workgroup_processor_mode 1
		.amdhsa_memory_ordered 1
		.amdhsa_forward_progress 0
		.amdhsa_shared_vgpr_count 0
		.amdhsa_exception_fp_ieee_invalid_op 0
		.amdhsa_exception_fp_denorm_src 0
		.amdhsa_exception_fp_ieee_div_zero 0
		.amdhsa_exception_fp_ieee_overflow 0
		.amdhsa_exception_fp_ieee_underflow 0
		.amdhsa_exception_fp_ieee_inexact 0
		.amdhsa_exception_int_div_zero 0
	.end_amdhsa_kernel
	.section	.text._Z30warp_striped_to_blocked_kernelI6__halfS0_Lj512ELj4EEvPT_PT0_,"axG",@progbits,_Z30warp_striped_to_blocked_kernelI6__halfS0_Lj512ELj4EEvPT_PT0_,comdat
.Lfunc_end72:
	.size	_Z30warp_striped_to_blocked_kernelI6__halfS0_Lj512ELj4EEvPT_PT0_, .Lfunc_end72-_Z30warp_striped_to_blocked_kernelI6__halfS0_Lj512ELj4EEvPT_PT0_
                                        ; -- End function
	.section	.AMDGPU.csdata,"",@progbits
; Kernel info:
; codeLenInByte = 244
; NumSgprs: 16
; NumVgprs: 11
; ScratchSize: 0
; MemoryBound: 0
; FloatMode: 240
; IeeeMode: 1
; LDSByteSize: 1056 bytes/workgroup (compile time only)
; SGPRBlocks: 1
; VGPRBlocks: 1
; NumSGPRsForWavesPerEU: 16
; NumVGPRsForWavesPerEU: 11
; Occupancy: 16
; WaveLimiterHint : 0
; COMPUTE_PGM_RSRC2:SCRATCH_EN: 0
; COMPUTE_PGM_RSRC2:USER_SGPR: 15
; COMPUTE_PGM_RSRC2:TRAP_HANDLER: 0
; COMPUTE_PGM_RSRC2:TGID_X_EN: 1
; COMPUTE_PGM_RSRC2:TGID_Y_EN: 0
; COMPUTE_PGM_RSRC2:TGID_Z_EN: 0
; COMPUTE_PGM_RSRC2:TIDIG_COMP_CNT: 0
	.section	.text._Z30warp_striped_to_blocked_kernelI12hip_bfloat16S0_Lj512ELj4EEvPT_PT0_,"axG",@progbits,_Z30warp_striped_to_blocked_kernelI12hip_bfloat16S0_Lj512ELj4EEvPT_PT0_,comdat
	.protected	_Z30warp_striped_to_blocked_kernelI12hip_bfloat16S0_Lj512ELj4EEvPT_PT0_ ; -- Begin function _Z30warp_striped_to_blocked_kernelI12hip_bfloat16S0_Lj512ELj4EEvPT_PT0_
	.globl	_Z30warp_striped_to_blocked_kernelI12hip_bfloat16S0_Lj512ELj4EEvPT_PT0_
	.p2align	8
	.type	_Z30warp_striped_to_blocked_kernelI12hip_bfloat16S0_Lj512ELj4EEvPT_PT0_,@function
_Z30warp_striped_to_blocked_kernelI12hip_bfloat16S0_Lj512ELj4EEvPT_PT0_: ; @_Z30warp_striped_to_blocked_kernelI12hip_bfloat16S0_Lj512ELj4EEvPT_PT0_
; %bb.0:
	s_load_b128 s[0:3], s[0:1], 0x0
	s_mov_b32 s5, 0
	s_lshl_b32 s4, s15, 9
	v_lshlrev_b32_e32 v3, 3, v0
	s_lshl_b64 s[4:5], s[4:5], 1
	v_lshlrev_b32_e32 v4, 2, v0
	v_mbcnt_lo_u32_b32 v5, -1, 0
	s_delay_alu instid0(VALU_DEP_2) | instskip(NEXT) | instid1(VALU_DEP_2)
	v_and_b32_e32 v4, 0x780, v4
	v_and_or_b32 v0, 0x1e0, v0, v5
	s_delay_alu instid0(VALU_DEP_2) | instskip(NEXT) | instid1(VALU_DEP_2)
	v_or_b32_e32 v6, v5, v4
	v_lshrrev_b32_e32 v9, 3, v0
	v_lshrrev_b32_e32 v4, 5, v4
	v_lshlrev_b32_e32 v0, 2, v0
	s_delay_alu instid0(VALU_DEP_4)
	v_or_b32_e32 v7, 0x60, v6
	s_waitcnt lgkmcnt(0)
	s_add_u32 s0, s0, s4
	s_addc_u32 s1, s1, s5
	v_or_b32_e32 v5, 64, v6
	global_load_b64 v[1:2], v3, s[0:1]
	v_lshrrev_b32_e32 v8, 5, v7
	v_and_b32_e32 v9, 62, v9
	v_add_lshl_u32 v4, v4, v6, 1
	v_lshrrev_b32_e32 v10, 5, v5
	s_add_u32 s0, s2, s4
	v_and_b32_e32 v8, 62, v8
	v_add_lshl_u32 v0, v9, v0, 1
	s_addc_u32 s1, s3, s5
	v_add_lshl_u32 v5, v10, v5, 1
	s_delay_alu instid0(VALU_DEP_3)
	v_add_lshl_u32 v6, v8, v7, 1
	s_waitcnt vmcnt(0)
	ds_store_b16 v4, v1
	ds_store_b16_d16_hi v4, v1 offset:64
	ds_store_b16 v5, v2
	ds_store_b16_d16_hi v6, v2
	; wave barrier
	ds_load_b64 v[0:1], v0
	s_waitcnt lgkmcnt(0)
	global_store_b64 v3, v[0:1], s[0:1]
	s_nop 0
	s_sendmsg sendmsg(MSG_DEALLOC_VGPRS)
	s_endpgm
	.section	.rodata,"a",@progbits
	.p2align	6, 0x0
	.amdhsa_kernel _Z30warp_striped_to_blocked_kernelI12hip_bfloat16S0_Lj512ELj4EEvPT_PT0_
		.amdhsa_group_segment_fixed_size 1056
		.amdhsa_private_segment_fixed_size 0
		.amdhsa_kernarg_size 16
		.amdhsa_user_sgpr_count 15
		.amdhsa_user_sgpr_dispatch_ptr 0
		.amdhsa_user_sgpr_queue_ptr 0
		.amdhsa_user_sgpr_kernarg_segment_ptr 1
		.amdhsa_user_sgpr_dispatch_id 0
		.amdhsa_user_sgpr_private_segment_size 0
		.amdhsa_wavefront_size32 1
		.amdhsa_uses_dynamic_stack 0
		.amdhsa_enable_private_segment 0
		.amdhsa_system_sgpr_workgroup_id_x 1
		.amdhsa_system_sgpr_workgroup_id_y 0
		.amdhsa_system_sgpr_workgroup_id_z 0
		.amdhsa_system_sgpr_workgroup_info 0
		.amdhsa_system_vgpr_workitem_id 0
		.amdhsa_next_free_vgpr 11
		.amdhsa_next_free_sgpr 16
		.amdhsa_reserve_vcc 0
		.amdhsa_float_round_mode_32 0
		.amdhsa_float_round_mode_16_64 0
		.amdhsa_float_denorm_mode_32 3
		.amdhsa_float_denorm_mode_16_64 3
		.amdhsa_dx10_clamp 1
		.amdhsa_ieee_mode 1
		.amdhsa_fp16_overflow 0
		.amdhsa_workgroup_processor_mode 1
		.amdhsa_memory_ordered 1
		.amdhsa_forward_progress 0
		.amdhsa_shared_vgpr_count 0
		.amdhsa_exception_fp_ieee_invalid_op 0
		.amdhsa_exception_fp_denorm_src 0
		.amdhsa_exception_fp_ieee_div_zero 0
		.amdhsa_exception_fp_ieee_overflow 0
		.amdhsa_exception_fp_ieee_underflow 0
		.amdhsa_exception_fp_ieee_inexact 0
		.amdhsa_exception_int_div_zero 0
	.end_amdhsa_kernel
	.section	.text._Z30warp_striped_to_blocked_kernelI12hip_bfloat16S0_Lj512ELj4EEvPT_PT0_,"axG",@progbits,_Z30warp_striped_to_blocked_kernelI12hip_bfloat16S0_Lj512ELj4EEvPT_PT0_,comdat
.Lfunc_end73:
	.size	_Z30warp_striped_to_blocked_kernelI12hip_bfloat16S0_Lj512ELj4EEvPT_PT0_, .Lfunc_end73-_Z30warp_striped_to_blocked_kernelI12hip_bfloat16S0_Lj512ELj4EEvPT_PT0_
                                        ; -- End function
	.section	.AMDGPU.csdata,"",@progbits
; Kernel info:
; codeLenInByte = 244
; NumSgprs: 16
; NumVgprs: 11
; ScratchSize: 0
; MemoryBound: 0
; FloatMode: 240
; IeeeMode: 1
; LDSByteSize: 1056 bytes/workgroup (compile time only)
; SGPRBlocks: 1
; VGPRBlocks: 1
; NumSGPRsForWavesPerEU: 16
; NumVGPRsForWavesPerEU: 11
; Occupancy: 16
; WaveLimiterHint : 0
; COMPUTE_PGM_RSRC2:SCRATCH_EN: 0
; COMPUTE_PGM_RSRC2:USER_SGPR: 15
; COMPUTE_PGM_RSRC2:TRAP_HANDLER: 0
; COMPUTE_PGM_RSRC2:TGID_X_EN: 1
; COMPUTE_PGM_RSRC2:TGID_Y_EN: 0
; COMPUTE_PGM_RSRC2:TGID_Z_EN: 0
; COMPUTE_PGM_RSRC2:TIDIG_COMP_CNT: 0
	.section	.text._Z30warp_striped_to_blocked_kernelIfdLj512ELj4EEvPT_PT0_,"axG",@progbits,_Z30warp_striped_to_blocked_kernelIfdLj512ELj4EEvPT_PT0_,comdat
	.protected	_Z30warp_striped_to_blocked_kernelIfdLj512ELj4EEvPT_PT0_ ; -- Begin function _Z30warp_striped_to_blocked_kernelIfdLj512ELj4EEvPT_PT0_
	.globl	_Z30warp_striped_to_blocked_kernelIfdLj512ELj4EEvPT_PT0_
	.p2align	8
	.type	_Z30warp_striped_to_blocked_kernelIfdLj512ELj4EEvPT_PT0_,@function
_Z30warp_striped_to_blocked_kernelIfdLj512ELj4EEvPT_PT0_: ; @_Z30warp_striped_to_blocked_kernelIfdLj512ELj4EEvPT_PT0_
; %bb.0:
	s_load_b128 s[0:3], s[0:1], 0x0
	s_mov_b32 s5, 0
	s_lshl_b32 s4, s15, 9
	v_lshlrev_b32_e32 v1, 4, v0
	s_lshl_b64 s[6:7], s[4:5], 2
	v_lshlrev_b32_e32 v5, 2, v0
	v_mbcnt_lo_u32_b32 v6, -1, 0
	s_delay_alu instid0(VALU_DEP_2) | instskip(NEXT) | instid1(VALU_DEP_1)
	v_and_b32_e32 v5, 0x780, v5
	v_or_b32_e32 v7, v6, v5
	v_and_or_b32 v6, 0x1e0, v0, v6
	v_lshrrev_b32_e32 v5, 5, v5
	v_lshlrev_b32_e32 v0, 5, v0
	s_delay_alu instid0(VALU_DEP_4)
	v_or_b32_e32 v8, 32, v7
	s_waitcnt lgkmcnt(0)
	s_add_u32 s0, s0, s6
	s_addc_u32 s1, s1, s7
	v_or_b32_e32 v9, 64, v7
	global_load_b128 v[1:4], v1, s[0:1]
	v_or_b32_e32 v10, 0x60, v7
	v_lshlrev_b32_e32 v11, 2, v6
	v_bfe_u32 v6, v6, 3, 27
	v_lshrrev_b32_e32 v12, 5, v8
	v_lshrrev_b32_e32 v13, 5, v9
	;; [unrolled: 1-line block ×3, first 2 shown]
	v_add_lshl_u32 v5, v5, v7, 2
	v_add_lshl_u32 v6, v6, v11, 2
	;; [unrolled: 1-line block ×5, first 2 shown]
	s_lshl_b64 s[0:1], s[4:5], 3
	s_waitcnt vmcnt(0)
	ds_store_b32 v5, v1
	ds_store_b32 v7, v2
	;; [unrolled: 1-line block ×4, first 2 shown]
	; wave barrier
	ds_load_2addr_b32 v[2:3], v6 offset1:1
	ds_load_2addr_b32 v[6:7], v6 offset0:2 offset1:3
	s_add_u32 s0, s2, s0
	s_addc_u32 s1, s3, s1
	s_waitcnt lgkmcnt(1)
	v_cvt_f64_f32_e32 v[1:2], v2
	v_cvt_f64_f32_e32 v[3:4], v3
	s_waitcnt lgkmcnt(0)
	v_cvt_f64_f32_e32 v[5:6], v6
	v_cvt_f64_f32_e32 v[7:8], v7
	s_clause 0x1
	global_store_b128 v0, v[1:4], s[0:1]
	global_store_b128 v0, v[5:8], s[0:1] offset:16
	s_nop 0
	s_sendmsg sendmsg(MSG_DEALLOC_VGPRS)
	s_endpgm
	.section	.rodata,"a",@progbits
	.p2align	6, 0x0
	.amdhsa_kernel _Z30warp_striped_to_blocked_kernelIfdLj512ELj4EEvPT_PT0_
		.amdhsa_group_segment_fixed_size 2112
		.amdhsa_private_segment_fixed_size 0
		.amdhsa_kernarg_size 16
		.amdhsa_user_sgpr_count 15
		.amdhsa_user_sgpr_dispatch_ptr 0
		.amdhsa_user_sgpr_queue_ptr 0
		.amdhsa_user_sgpr_kernarg_segment_ptr 1
		.amdhsa_user_sgpr_dispatch_id 0
		.amdhsa_user_sgpr_private_segment_size 0
		.amdhsa_wavefront_size32 1
		.amdhsa_uses_dynamic_stack 0
		.amdhsa_enable_private_segment 0
		.amdhsa_system_sgpr_workgroup_id_x 1
		.amdhsa_system_sgpr_workgroup_id_y 0
		.amdhsa_system_sgpr_workgroup_id_z 0
		.amdhsa_system_sgpr_workgroup_info 0
		.amdhsa_system_vgpr_workitem_id 0
		.amdhsa_next_free_vgpr 15
		.amdhsa_next_free_sgpr 16
		.amdhsa_reserve_vcc 0
		.amdhsa_float_round_mode_32 0
		.amdhsa_float_round_mode_16_64 0
		.amdhsa_float_denorm_mode_32 3
		.amdhsa_float_denorm_mode_16_64 3
		.amdhsa_dx10_clamp 1
		.amdhsa_ieee_mode 1
		.amdhsa_fp16_overflow 0
		.amdhsa_workgroup_processor_mode 1
		.amdhsa_memory_ordered 1
		.amdhsa_forward_progress 0
		.amdhsa_shared_vgpr_count 0
		.amdhsa_exception_fp_ieee_invalid_op 0
		.amdhsa_exception_fp_denorm_src 0
		.amdhsa_exception_fp_ieee_div_zero 0
		.amdhsa_exception_fp_ieee_overflow 0
		.amdhsa_exception_fp_ieee_underflow 0
		.amdhsa_exception_fp_ieee_inexact 0
		.amdhsa_exception_int_div_zero 0
	.end_amdhsa_kernel
	.section	.text._Z30warp_striped_to_blocked_kernelIfdLj512ELj4EEvPT_PT0_,"axG",@progbits,_Z30warp_striped_to_blocked_kernelIfdLj512ELj4EEvPT_PT0_,comdat
.Lfunc_end74:
	.size	_Z30warp_striped_to_blocked_kernelIfdLj512ELj4EEvPT_PT0_, .Lfunc_end74-_Z30warp_striped_to_blocked_kernelIfdLj512ELj4EEvPT_PT0_
                                        ; -- End function
	.section	.AMDGPU.csdata,"",@progbits
; Kernel info:
; codeLenInByte = 296
; NumSgprs: 16
; NumVgprs: 15
; ScratchSize: 0
; MemoryBound: 0
; FloatMode: 240
; IeeeMode: 1
; LDSByteSize: 2112 bytes/workgroup (compile time only)
; SGPRBlocks: 1
; VGPRBlocks: 1
; NumSGPRsForWavesPerEU: 16
; NumVGPRsForWavesPerEU: 15
; Occupancy: 16
; WaveLimiterHint : 0
; COMPUTE_PGM_RSRC2:SCRATCH_EN: 0
; COMPUTE_PGM_RSRC2:USER_SGPR: 15
; COMPUTE_PGM_RSRC2:TRAP_HANDLER: 0
; COMPUTE_PGM_RSRC2:TGID_X_EN: 1
; COMPUTE_PGM_RSRC2:TGID_Y_EN: 0
; COMPUTE_PGM_RSRC2:TGID_Z_EN: 0
; COMPUTE_PGM_RSRC2:TIDIG_COMP_CNT: 0
	.section	.text._Z30warp_striped_to_blocked_kernelIiiLj512ELj4EEvPT_PT0_,"axG",@progbits,_Z30warp_striped_to_blocked_kernelIiiLj512ELj4EEvPT_PT0_,comdat
	.protected	_Z30warp_striped_to_blocked_kernelIiiLj512ELj4EEvPT_PT0_ ; -- Begin function _Z30warp_striped_to_blocked_kernelIiiLj512ELj4EEvPT_PT0_
	.globl	_Z30warp_striped_to_blocked_kernelIiiLj512ELj4EEvPT_PT0_
	.p2align	8
	.type	_Z30warp_striped_to_blocked_kernelIiiLj512ELj4EEvPT_PT0_,@function
_Z30warp_striped_to_blocked_kernelIiiLj512ELj4EEvPT_PT0_: ; @_Z30warp_striped_to_blocked_kernelIiiLj512ELj4EEvPT_PT0_
; %bb.0:
	s_load_b128 s[0:3], s[0:1], 0x0
	s_mov_b32 s5, 0
	s_lshl_b32 s4, s15, 9
	v_lshlrev_b32_e32 v5, 4, v0
	s_lshl_b64 s[4:5], s[4:5], 2
	v_lshlrev_b32_e32 v6, 2, v0
	v_mbcnt_lo_u32_b32 v7, -1, 0
	s_delay_alu instid0(VALU_DEP_2) | instskip(NEXT) | instid1(VALU_DEP_2)
	v_and_b32_e32 v6, 0x780, v6
	v_and_or_b32 v0, 0x1e0, v0, v7
	s_delay_alu instid0(VALU_DEP_2) | instskip(NEXT) | instid1(VALU_DEP_2)
	v_or_b32_e32 v8, v7, v6
	v_lshlrev_b32_e32 v11, 2, v0
	v_lshrrev_b32_e32 v6, 5, v6
	v_bfe_u32 v0, v0, 3, 27
	s_delay_alu instid0(VALU_DEP_4)
	v_or_b32_e32 v9, 64, v8
	s_waitcnt lgkmcnt(0)
	s_add_u32 s0, s0, s4
	s_addc_u32 s1, s1, s5
	v_or_b32_e32 v10, 0x60, v8
	global_load_b128 v[1:4], v5, s[0:1]
	v_or_b32_e32 v7, 32, v8
	v_lshrrev_b32_e32 v13, 5, v9
	v_add_lshl_u32 v6, v6, v8, 2
	v_lshrrev_b32_e32 v14, 5, v10
	s_add_u32 s0, s2, s4
	v_lshrrev_b32_e32 v12, 5, v7
	v_add_lshl_u32 v8, v13, v9, 2
	s_addc_u32 s1, s3, s5
	v_add_lshl_u32 v9, v14, v10, 2
	v_add_lshl_u32 v10, v0, v11, 2
	;; [unrolled: 1-line block ×3, first 2 shown]
	s_waitcnt vmcnt(0)
	ds_store_b32 v6, v1
	ds_store_b32 v7, v2
	;; [unrolled: 1-line block ×4, first 2 shown]
	; wave barrier
	ds_load_2addr_b32 v[0:1], v10 offset1:1
	ds_load_2addr_b32 v[2:3], v10 offset0:2 offset1:3
	s_waitcnt lgkmcnt(0)
	global_store_b128 v5, v[0:3], s[0:1]
	s_nop 0
	s_sendmsg sendmsg(MSG_DEALLOC_VGPRS)
	s_endpgm
	.section	.rodata,"a",@progbits
	.p2align	6, 0x0
	.amdhsa_kernel _Z30warp_striped_to_blocked_kernelIiiLj512ELj4EEvPT_PT0_
		.amdhsa_group_segment_fixed_size 2112
		.amdhsa_private_segment_fixed_size 0
		.amdhsa_kernarg_size 16
		.amdhsa_user_sgpr_count 15
		.amdhsa_user_sgpr_dispatch_ptr 0
		.amdhsa_user_sgpr_queue_ptr 0
		.amdhsa_user_sgpr_kernarg_segment_ptr 1
		.amdhsa_user_sgpr_dispatch_id 0
		.amdhsa_user_sgpr_private_segment_size 0
		.amdhsa_wavefront_size32 1
		.amdhsa_uses_dynamic_stack 0
		.amdhsa_enable_private_segment 0
		.amdhsa_system_sgpr_workgroup_id_x 1
		.amdhsa_system_sgpr_workgroup_id_y 0
		.amdhsa_system_sgpr_workgroup_id_z 0
		.amdhsa_system_sgpr_workgroup_info 0
		.amdhsa_system_vgpr_workitem_id 0
		.amdhsa_next_free_vgpr 15
		.amdhsa_next_free_sgpr 16
		.amdhsa_reserve_vcc 0
		.amdhsa_float_round_mode_32 0
		.amdhsa_float_round_mode_16_64 0
		.amdhsa_float_denorm_mode_32 3
		.amdhsa_float_denorm_mode_16_64 3
		.amdhsa_dx10_clamp 1
		.amdhsa_ieee_mode 1
		.amdhsa_fp16_overflow 0
		.amdhsa_workgroup_processor_mode 1
		.amdhsa_memory_ordered 1
		.amdhsa_forward_progress 0
		.amdhsa_shared_vgpr_count 0
		.amdhsa_exception_fp_ieee_invalid_op 0
		.amdhsa_exception_fp_denorm_src 0
		.amdhsa_exception_fp_ieee_div_zero 0
		.amdhsa_exception_fp_ieee_overflow 0
		.amdhsa_exception_fp_ieee_underflow 0
		.amdhsa_exception_fp_ieee_inexact 0
		.amdhsa_exception_int_div_zero 0
	.end_amdhsa_kernel
	.section	.text._Z30warp_striped_to_blocked_kernelIiiLj512ELj4EEvPT_PT0_,"axG",@progbits,_Z30warp_striped_to_blocked_kernelIiiLj512ELj4EEvPT_PT0_,comdat
.Lfunc_end75:
	.size	_Z30warp_striped_to_blocked_kernelIiiLj512ELj4EEvPT_PT0_, .Lfunc_end75-_Z30warp_striped_to_blocked_kernelIiiLj512ELj4EEvPT_PT0_
                                        ; -- End function
	.section	.AMDGPU.csdata,"",@progbits
; Kernel info:
; codeLenInByte = 260
; NumSgprs: 16
; NumVgprs: 15
; ScratchSize: 0
; MemoryBound: 0
; FloatMode: 240
; IeeeMode: 1
; LDSByteSize: 2112 bytes/workgroup (compile time only)
; SGPRBlocks: 1
; VGPRBlocks: 1
; NumSGPRsForWavesPerEU: 16
; NumVGPRsForWavesPerEU: 15
; Occupancy: 16
; WaveLimiterHint : 0
; COMPUTE_PGM_RSRC2:SCRATCH_EN: 0
; COMPUTE_PGM_RSRC2:USER_SGPR: 15
; COMPUTE_PGM_RSRC2:TRAP_HANDLER: 0
; COMPUTE_PGM_RSRC2:TGID_X_EN: 1
; COMPUTE_PGM_RSRC2:TGID_Y_EN: 0
; COMPUTE_PGM_RSRC2:TGID_Z_EN: 0
; COMPUTE_PGM_RSRC2:TIDIG_COMP_CNT: 0
	.section	.text._Z25scatter_to_blocked_kernelIsiLj2106ELj9EEvPT_PT0_Pj,"axG",@progbits,_Z25scatter_to_blocked_kernelIsiLj2106ELj9EEvPT_PT0_Pj,comdat
	.protected	_Z25scatter_to_blocked_kernelIsiLj2106ELj9EEvPT_PT0_Pj ; -- Begin function _Z25scatter_to_blocked_kernelIsiLj2106ELj9EEvPT_PT0_Pj
	.globl	_Z25scatter_to_blocked_kernelIsiLj2106ELj9EEvPT_PT0_Pj
	.p2align	8
	.type	_Z25scatter_to_blocked_kernelIsiLj2106ELj9EEvPT_PT0_Pj,@function
_Z25scatter_to_blocked_kernelIsiLj2106ELj9EEvPT_PT0_Pj: ; @_Z25scatter_to_blocked_kernelIsiLj2106ELj9EEvPT_PT0_Pj
; %bb.0:
	s_clause 0x1
	s_load_b128 s[4:7], s[0:1], 0x0
	s_load_b64 s[0:1], s[0:1], 0x10
	v_mul_u32_u24_e32 v8, 9, v0
	s_mov_b32 s3, 0
	s_mul_i32 s2, s15, 0x83a
	s_delay_alu instid0(SALU_CYCLE_1) | instskip(NEXT) | instid1(VALU_DEP_1)
	s_lshl_b64 s[8:9], s[2:3], 1
	v_lshlrev_b32_e32 v12, 2, v8
	v_lshlrev_b32_e32 v13, 1, v8
	s_waitcnt lgkmcnt(0)
	s_add_u32 s4, s4, s8
	s_addc_u32 s5, s5, s9
	s_lshl_b64 s[2:3], s[2:3], 2
	s_delay_alu instid0(SALU_CYCLE_1)
	s_add_u32 s0, s0, s2
	s_addc_u32 s1, s1, s3
	s_clause 0x2
	global_load_b128 v[0:3], v12, s[0:1]
	global_load_b128 v[4:7], v12, s[0:1] offset:16
	global_load_b32 v14, v12, s[0:1] offset:32
	s_clause 0x1
	global_load_b128 v[8:11], v13, s[4:5]
	global_load_u16 v15, v13, s[4:5] offset:16
	s_add_u32 s0, s6, s2
	s_addc_u32 s1, s7, s3
	s_waitcnt vmcnt(2)
	v_lshlrev_b32_e32 v14, 1, v14
	v_lshlrev_b32_e32 v0, 1, v0
	;; [unrolled: 1-line block ×9, first 2 shown]
	s_waitcnt vmcnt(1)
	ds_store_b16 v0, v8
	ds_store_b16_d16_hi v1, v8
	ds_store_b16 v2, v9
	ds_store_b16_d16_hi v3, v9
	;; [unrolled: 2-line block ×4, first 2 shown]
	s_waitcnt vmcnt(0)
	ds_store_b16 v14, v15
	s_waitcnt lgkmcnt(0)
	s_barrier
	buffer_gl0_inv
	ds_load_b128 v[0:3], v13
	ds_load_i16 v8, v13 offset:16
	s_waitcnt lgkmcnt(1)
	v_bfe_i32 v4, v0, 0, 16
	v_ashrrev_i32_e32 v5, 16, v0
	v_bfe_i32 v6, v1, 0, 16
	v_ashrrev_i32_e32 v7, 16, v1
	;; [unrolled: 2-line block ×4, first 2 shown]
	s_clause 0x1
	global_store_b128 v12, v[4:7], s[0:1]
	global_store_b128 v12, v[0:3], s[0:1] offset:16
	s_waitcnt lgkmcnt(0)
	global_store_b32 v12, v8, s[0:1] offset:32
	s_nop 0
	s_sendmsg sendmsg(MSG_DEALLOC_VGPRS)
	s_endpgm
	.section	.rodata,"a",@progbits
	.p2align	6, 0x0
	.amdhsa_kernel _Z25scatter_to_blocked_kernelIsiLj2106ELj9EEvPT_PT0_Pj
		.amdhsa_group_segment_fixed_size 4224
		.amdhsa_private_segment_fixed_size 0
		.amdhsa_kernarg_size 24
		.amdhsa_user_sgpr_count 15
		.amdhsa_user_sgpr_dispatch_ptr 0
		.amdhsa_user_sgpr_queue_ptr 0
		.amdhsa_user_sgpr_kernarg_segment_ptr 1
		.amdhsa_user_sgpr_dispatch_id 0
		.amdhsa_user_sgpr_private_segment_size 0
		.amdhsa_wavefront_size32 1
		.amdhsa_uses_dynamic_stack 0
		.amdhsa_enable_private_segment 0
		.amdhsa_system_sgpr_workgroup_id_x 1
		.amdhsa_system_sgpr_workgroup_id_y 0
		.amdhsa_system_sgpr_workgroup_id_z 0
		.amdhsa_system_sgpr_workgroup_info 0
		.amdhsa_system_vgpr_workitem_id 0
		.amdhsa_next_free_vgpr 16
		.amdhsa_next_free_sgpr 16
		.amdhsa_reserve_vcc 0
		.amdhsa_float_round_mode_32 0
		.amdhsa_float_round_mode_16_64 0
		.amdhsa_float_denorm_mode_32 3
		.amdhsa_float_denorm_mode_16_64 3
		.amdhsa_dx10_clamp 1
		.amdhsa_ieee_mode 1
		.amdhsa_fp16_overflow 0
		.amdhsa_workgroup_processor_mode 1
		.amdhsa_memory_ordered 1
		.amdhsa_forward_progress 0
		.amdhsa_shared_vgpr_count 0
		.amdhsa_exception_fp_ieee_invalid_op 0
		.amdhsa_exception_fp_denorm_src 0
		.amdhsa_exception_fp_ieee_div_zero 0
		.amdhsa_exception_fp_ieee_overflow 0
		.amdhsa_exception_fp_ieee_underflow 0
		.amdhsa_exception_fp_ieee_inexact 0
		.amdhsa_exception_int_div_zero 0
	.end_amdhsa_kernel
	.section	.text._Z25scatter_to_blocked_kernelIsiLj2106ELj9EEvPT_PT0_Pj,"axG",@progbits,_Z25scatter_to_blocked_kernelIsiLj2106ELj9EEvPT_PT0_Pj,comdat
.Lfunc_end76:
	.size	_Z25scatter_to_blocked_kernelIsiLj2106ELj9EEvPT_PT0_Pj, .Lfunc_end76-_Z25scatter_to_blocked_kernelIsiLj2106ELj9EEvPT_PT0_Pj
                                        ; -- End function
	.section	.AMDGPU.csdata,"",@progbits
; Kernel info:
; codeLenInByte = 384
; NumSgprs: 16
; NumVgprs: 16
; ScratchSize: 0
; MemoryBound: 0
; FloatMode: 240
; IeeeMode: 1
; LDSByteSize: 4224 bytes/workgroup (compile time only)
; SGPRBlocks: 1
; VGPRBlocks: 1
; NumSGPRsForWavesPerEU: 16
; NumVGPRsForWavesPerEU: 16
; Occupancy: 16
; WaveLimiterHint : 0
; COMPUTE_PGM_RSRC2:SCRATCH_EN: 0
; COMPUTE_PGM_RSRC2:USER_SGPR: 15
; COMPUTE_PGM_RSRC2:TRAP_HANDLER: 0
; COMPUTE_PGM_RSRC2:TGID_X_EN: 1
; COMPUTE_PGM_RSRC2:TGID_Y_EN: 0
; COMPUTE_PGM_RSRC2:TGID_Z_EN: 0
; COMPUTE_PGM_RSRC2:TIDIG_COMP_CNT: 0
	.section	.text._Z25scatter_to_blocked_kernelItjLj300ELj3EEvPT_PT0_Pj,"axG",@progbits,_Z25scatter_to_blocked_kernelItjLj300ELj3EEvPT_PT0_Pj,comdat
	.protected	_Z25scatter_to_blocked_kernelItjLj300ELj3EEvPT_PT0_Pj ; -- Begin function _Z25scatter_to_blocked_kernelItjLj300ELj3EEvPT_PT0_Pj
	.globl	_Z25scatter_to_blocked_kernelItjLj300ELj3EEvPT_PT0_Pj
	.p2align	8
	.type	_Z25scatter_to_blocked_kernelItjLj300ELj3EEvPT_PT0_Pj,@function
_Z25scatter_to_blocked_kernelItjLj300ELj3EEvPT_PT0_Pj: ; @_Z25scatter_to_blocked_kernelItjLj300ELj3EEvPT_PT0_Pj
; %bb.0:
	s_clause 0x1
	s_load_b128 s[4:7], s[0:1], 0x0
	s_load_b64 s[0:1], s[0:1], 0x10
	v_mul_u32_u24_e32 v0, 3, v0
	s_mov_b32 s3, 0
	s_mul_i32 s2, s15, 0x12c
	s_delay_alu instid0(SALU_CYCLE_1) | instskip(NEXT) | instid1(VALU_DEP_1)
	s_lshl_b64 s[8:9], s[2:3], 1
	v_lshlrev_b32_e32 v3, 2, v0
	v_lshlrev_b32_e32 v4, 1, v0
	s_waitcnt lgkmcnt(0)
	s_add_u32 s4, s4, s8
	s_addc_u32 s5, s5, s9
	s_lshl_b64 s[2:3], s[2:3], 2
	s_delay_alu instid0(SALU_CYCLE_1)
	s_add_u32 s0, s0, s2
	s_addc_u32 s1, s1, s3
	global_load_b96 v[0:2], v3, s[0:1]
	s_clause 0x1
	global_load_b32 v5, v4, s[4:5]
	global_load_u16 v6, v4, s[4:5] offset:4
	s_add_u32 s0, s6, s2
	s_addc_u32 s1, s7, s3
	s_waitcnt vmcnt(2)
	v_lshlrev_b32_e32 v0, 1, v0
	v_lshlrev_b32_e32 v1, 1, v1
	;; [unrolled: 1-line block ×3, first 2 shown]
	s_waitcnt vmcnt(1)
	ds_store_b16 v0, v5
	ds_store_b16_d16_hi v1, v5
	s_waitcnt vmcnt(0)
	ds_store_b16 v2, v6
	s_waitcnt lgkmcnt(0)
	s_barrier
	buffer_gl0_inv
	ds_load_u16 v0, v4
	ds_load_u16 v1, v4 offset:2
	ds_load_u16 v2, v4 offset:4
	s_waitcnt lgkmcnt(0)
	global_store_b96 v3, v[0:2], s[0:1]
	s_nop 0
	s_sendmsg sendmsg(MSG_DEALLOC_VGPRS)
	s_endpgm
	.section	.rodata,"a",@progbits
	.p2align	6, 0x0
	.amdhsa_kernel _Z25scatter_to_blocked_kernelItjLj300ELj3EEvPT_PT0_Pj
		.amdhsa_group_segment_fixed_size 608
		.amdhsa_private_segment_fixed_size 0
		.amdhsa_kernarg_size 24
		.amdhsa_user_sgpr_count 15
		.amdhsa_user_sgpr_dispatch_ptr 0
		.amdhsa_user_sgpr_queue_ptr 0
		.amdhsa_user_sgpr_kernarg_segment_ptr 1
		.amdhsa_user_sgpr_dispatch_id 0
		.amdhsa_user_sgpr_private_segment_size 0
		.amdhsa_wavefront_size32 1
		.amdhsa_uses_dynamic_stack 0
		.amdhsa_enable_private_segment 0
		.amdhsa_system_sgpr_workgroup_id_x 1
		.amdhsa_system_sgpr_workgroup_id_y 0
		.amdhsa_system_sgpr_workgroup_id_z 0
		.amdhsa_system_sgpr_workgroup_info 0
		.amdhsa_system_vgpr_workitem_id 0
		.amdhsa_next_free_vgpr 7
		.amdhsa_next_free_sgpr 16
		.amdhsa_reserve_vcc 0
		.amdhsa_float_round_mode_32 0
		.amdhsa_float_round_mode_16_64 0
		.amdhsa_float_denorm_mode_32 3
		.amdhsa_float_denorm_mode_16_64 3
		.amdhsa_dx10_clamp 1
		.amdhsa_ieee_mode 1
		.amdhsa_fp16_overflow 0
		.amdhsa_workgroup_processor_mode 1
		.amdhsa_memory_ordered 1
		.amdhsa_forward_progress 0
		.amdhsa_shared_vgpr_count 0
		.amdhsa_exception_fp_ieee_invalid_op 0
		.amdhsa_exception_fp_denorm_src 0
		.amdhsa_exception_fp_ieee_div_zero 0
		.amdhsa_exception_fp_ieee_overflow 0
		.amdhsa_exception_fp_ieee_underflow 0
		.amdhsa_exception_fp_ieee_inexact 0
		.amdhsa_exception_int_div_zero 0
	.end_amdhsa_kernel
	.section	.text._Z25scatter_to_blocked_kernelItjLj300ELj3EEvPT_PT0_Pj,"axG",@progbits,_Z25scatter_to_blocked_kernelItjLj300ELj3EEvPT_PT0_Pj,comdat
.Lfunc_end77:
	.size	_Z25scatter_to_blocked_kernelItjLj300ELj3EEvPT_PT0_Pj, .Lfunc_end77-_Z25scatter_to_blocked_kernelItjLj300ELj3EEvPT_PT0_Pj
                                        ; -- End function
	.section	.AMDGPU.csdata,"",@progbits
; Kernel info:
; codeLenInByte = 228
; NumSgprs: 16
; NumVgprs: 7
; ScratchSize: 0
; MemoryBound: 0
; FloatMode: 240
; IeeeMode: 1
; LDSByteSize: 608 bytes/workgroup (compile time only)
; SGPRBlocks: 1
; VGPRBlocks: 0
; NumSGPRsForWavesPerEU: 16
; NumVGPRsForWavesPerEU: 7
; Occupancy: 16
; WaveLimiterHint : 0
; COMPUTE_PGM_RSRC2:SCRATCH_EN: 0
; COMPUTE_PGM_RSRC2:USER_SGPR: 15
; COMPUTE_PGM_RSRC2:TRAP_HANDLER: 0
; COMPUTE_PGM_RSRC2:TGID_X_EN: 1
; COMPUTE_PGM_RSRC2:TGID_Y_EN: 0
; COMPUTE_PGM_RSRC2:TGID_Z_EN: 0
; COMPUTE_PGM_RSRC2:TIDIG_COMP_CNT: 0
	.section	.text._Z25scatter_to_blocked_kernelIc5dummyIdELj928ELj2EEvPT_PT0_Pj,"axG",@progbits,_Z25scatter_to_blocked_kernelIc5dummyIdELj928ELj2EEvPT_PT0_Pj,comdat
	.protected	_Z25scatter_to_blocked_kernelIc5dummyIdELj928ELj2EEvPT_PT0_Pj ; -- Begin function _Z25scatter_to_blocked_kernelIc5dummyIdELj928ELj2EEvPT_PT0_Pj
	.globl	_Z25scatter_to_blocked_kernelIc5dummyIdELj928ELj2EEvPT_PT0_Pj
	.p2align	8
	.type	_Z25scatter_to_blocked_kernelIc5dummyIdELj928ELj2EEvPT_PT0_Pj,@function
_Z25scatter_to_blocked_kernelIc5dummyIdELj928ELj2EEvPT_PT0_Pj: ; @_Z25scatter_to_blocked_kernelIc5dummyIdELj928ELj2EEvPT_PT0_Pj
; %bb.0:
	s_clause 0x1
	s_load_b128 s[4:7], s[0:1], 0x0
	s_load_b64 s[0:1], s[0:1], 0x10
	s_mul_i32 s2, s15, 0x3a0
	s_mov_b32 s3, 0
	v_lshlrev_b32_e32 v1, 3, v0
	v_lshlrev_b32_e32 v3, 1, v0
	v_lshrrev_b32_e32 v7, 4, v0
	v_lshlrev_b32_e32 v0, 5, v0
	s_delay_alu instid0(VALU_DEP_2)
	v_and_b32_e32 v7, 28, v7
	s_waitcnt lgkmcnt(0)
	s_add_u32 s4, s4, s2
	s_addc_u32 s5, s5, 0
	s_lshl_b64 s[8:9], s[2:3], 2
	global_load_u16 v4, v3, s[4:5]
	s_add_u32 s0, s0, s8
	s_addc_u32 s1, s1, s9
	v_add_nc_u32_e32 v3, v7, v3
	global_load_b64 v[1:2], v1, s[0:1]
	s_lshl_b64 s[0:1], s[2:3], 4
	s_delay_alu instid0(SALU_CYCLE_1)
	s_add_u32 s0, s6, s0
	s_addc_u32 s1, s7, s1
	s_waitcnt vmcnt(1)
	v_lshrrev_b16 v8, 8, v4
	s_waitcnt vmcnt(0)
	v_lshrrev_b32_e32 v5, 5, v1
	v_lshrrev_b32_e32 v6, 5, v2
	s_delay_alu instid0(VALU_DEP_2) | instskip(NEXT) | instid1(VALU_DEP_2)
	v_and_b32_e32 v5, 0x7fffffc, v5
	v_and_b32_e32 v6, 0x7fffffc, v6
	s_delay_alu instid0(VALU_DEP_2) | instskip(NEXT) | instid1(VALU_DEP_2)
	v_add_nc_u32_e32 v1, v5, v1
	v_add_nc_u32_e32 v2, v6, v2
	ds_store_b8 v1, v4
	ds_store_b8 v2, v8
	s_waitcnt lgkmcnt(0)
	s_barrier
	buffer_gl0_inv
	ds_load_i8 v1, v3
	ds_load_i8 v2, v3 offset:1
	s_waitcnt lgkmcnt(1)
	v_add_nc_u32_e32 v3, 1, v1
	v_lshlrev_b32_e32 v4, 1, v1
	s_waitcnt lgkmcnt(0)
	v_add_nc_u32_e32 v5, 1, v2
	v_lshlrev_b32_e32 v7, 1, v2
	v_cvt_f64_i32_e32 v[1:2], v3
	v_cvt_f64_i32_e32 v[3:4], v4
	s_delay_alu instid0(VALU_DEP_4) | instskip(NEXT) | instid1(VALU_DEP_4)
	v_cvt_f64_i32_e32 v[5:6], v5
	v_cvt_f64_i32_e32 v[7:8], v7
	s_clause 0x1
	global_store_b128 v0, v[1:4], s[0:1]
	global_store_b128 v0, v[5:8], s[0:1] offset:16
	s_nop 0
	s_sendmsg sendmsg(MSG_DEALLOC_VGPRS)
	s_endpgm
	.section	.rodata,"a",@progbits
	.p2align	6, 0x0
	.amdhsa_kernel _Z25scatter_to_blocked_kernelIc5dummyIdELj928ELj2EEvPT_PT0_Pj
		.amdhsa_group_segment_fixed_size 960
		.amdhsa_private_segment_fixed_size 0
		.amdhsa_kernarg_size 24
		.amdhsa_user_sgpr_count 15
		.amdhsa_user_sgpr_dispatch_ptr 0
		.amdhsa_user_sgpr_queue_ptr 0
		.amdhsa_user_sgpr_kernarg_segment_ptr 1
		.amdhsa_user_sgpr_dispatch_id 0
		.amdhsa_user_sgpr_private_segment_size 0
		.amdhsa_wavefront_size32 1
		.amdhsa_uses_dynamic_stack 0
		.amdhsa_enable_private_segment 0
		.amdhsa_system_sgpr_workgroup_id_x 1
		.amdhsa_system_sgpr_workgroup_id_y 0
		.amdhsa_system_sgpr_workgroup_id_z 0
		.amdhsa_system_sgpr_workgroup_info 0
		.amdhsa_system_vgpr_workitem_id 0
		.amdhsa_next_free_vgpr 9
		.amdhsa_next_free_sgpr 16
		.amdhsa_reserve_vcc 0
		.amdhsa_float_round_mode_32 0
		.amdhsa_float_round_mode_16_64 0
		.amdhsa_float_denorm_mode_32 3
		.amdhsa_float_denorm_mode_16_64 3
		.amdhsa_dx10_clamp 1
		.amdhsa_ieee_mode 1
		.amdhsa_fp16_overflow 0
		.amdhsa_workgroup_processor_mode 1
		.amdhsa_memory_ordered 1
		.amdhsa_forward_progress 0
		.amdhsa_shared_vgpr_count 0
		.amdhsa_exception_fp_ieee_invalid_op 0
		.amdhsa_exception_fp_denorm_src 0
		.amdhsa_exception_fp_ieee_div_zero 0
		.amdhsa_exception_fp_ieee_overflow 0
		.amdhsa_exception_fp_ieee_underflow 0
		.amdhsa_exception_fp_ieee_inexact 0
		.amdhsa_exception_int_div_zero 0
	.end_amdhsa_kernel
	.section	.text._Z25scatter_to_blocked_kernelIc5dummyIdELj928ELj2EEvPT_PT0_Pj,"axG",@progbits,_Z25scatter_to_blocked_kernelIc5dummyIdELj928ELj2EEvPT_PT0_Pj,comdat
.Lfunc_end78:
	.size	_Z25scatter_to_blocked_kernelIc5dummyIdELj928ELj2EEvPT_PT0_Pj, .Lfunc_end78-_Z25scatter_to_blocked_kernelIc5dummyIdELj928ELj2EEvPT_PT0_Pj
                                        ; -- End function
	.section	.AMDGPU.csdata,"",@progbits
; Kernel info:
; codeLenInByte = 296
; NumSgprs: 16
; NumVgprs: 9
; ScratchSize: 0
; MemoryBound: 0
; FloatMode: 240
; IeeeMode: 1
; LDSByteSize: 960 bytes/workgroup (compile time only)
; SGPRBlocks: 1
; VGPRBlocks: 1
; NumSGPRsForWavesPerEU: 16
; NumVGPRsForWavesPerEU: 9
; Occupancy: 16
; WaveLimiterHint : 0
; COMPUTE_PGM_RSRC2:SCRATCH_EN: 0
; COMPUTE_PGM_RSRC2:USER_SGPR: 15
; COMPUTE_PGM_RSRC2:TRAP_HANDLER: 0
; COMPUTE_PGM_RSRC2:TGID_X_EN: 1
; COMPUTE_PGM_RSRC2:TGID_Y_EN: 0
; COMPUTE_PGM_RSRC2:TGID_Z_EN: 0
; COMPUTE_PGM_RSRC2:TIDIG_COMP_CNT: 0
	.section	.text._Z25scatter_to_blocked_kernelIfiLj165ELj5EEvPT_PT0_Pj,"axG",@progbits,_Z25scatter_to_blocked_kernelIfiLj165ELj5EEvPT_PT0_Pj,comdat
	.protected	_Z25scatter_to_blocked_kernelIfiLj165ELj5EEvPT_PT0_Pj ; -- Begin function _Z25scatter_to_blocked_kernelIfiLj165ELj5EEvPT_PT0_Pj
	.globl	_Z25scatter_to_blocked_kernelIfiLj165ELj5EEvPT_PT0_Pj
	.p2align	8
	.type	_Z25scatter_to_blocked_kernelIfiLj165ELj5EEvPT_PT0_Pj,@function
_Z25scatter_to_blocked_kernelIfiLj165ELj5EEvPT_PT0_Pj: ; @_Z25scatter_to_blocked_kernelIfiLj165ELj5EEvPT_PT0_Pj
; %bb.0:
	s_clause 0x1
	s_load_b128 s[4:7], s[0:1], 0x0
	s_load_b64 s[0:1], s[0:1], 0x10
	v_mul_u32_u24_e32 v0, 5, v0
	s_mov_b32 s3, 0
	s_mul_i32 s2, s15, 0xa5
	s_delay_alu instid0(SALU_CYCLE_1) | instskip(NEXT) | instid1(VALU_DEP_1)
	s_lshl_b64 s[2:3], s[2:3], 2
	v_lshlrev_b32_e32 v8, 2, v0
	s_waitcnt lgkmcnt(0)
	s_add_u32 s4, s4, s2
	s_addc_u32 s5, s5, s3
	s_add_u32 s0, s0, s2
	s_addc_u32 s1, s1, s3
	s_clause 0x3
	global_load_b128 v[0:3], v8, s[0:1]
	global_load_b32 v9, v8, s[0:1] offset:16
	global_load_b128 v[4:7], v8, s[4:5]
	global_load_b32 v10, v8, s[4:5] offset:16
	s_add_u32 s0, s6, s2
	s_addc_u32 s1, s7, s3
	s_waitcnt vmcnt(3)
	v_lshlrev_b32_e32 v0, 2, v0
	v_lshlrev_b32_e32 v1, 2, v1
	;; [unrolled: 1-line block ×4, first 2 shown]
	s_waitcnt vmcnt(2)
	v_lshlrev_b32_e32 v9, 2, v9
	s_waitcnt vmcnt(1)
	ds_store_b32 v0, v4
	ds_store_b32 v1, v5
	;; [unrolled: 1-line block ×4, first 2 shown]
	s_waitcnt vmcnt(0)
	ds_store_b32 v9, v10
	s_waitcnt lgkmcnt(0)
	s_barrier
	buffer_gl0_inv
	ds_load_2addr_b32 v[0:1], v8 offset1:1
	ds_load_2addr_b32 v[2:3], v8 offset0:2 offset1:3
	ds_load_b32 v4, v8 offset:16
	s_waitcnt lgkmcnt(2)
	v_cvt_i32_f32_e32 v0, v0
	v_cvt_i32_f32_e32 v1, v1
	s_waitcnt lgkmcnt(1)
	v_cvt_i32_f32_e32 v2, v2
	v_cvt_i32_f32_e32 v3, v3
	s_waitcnt lgkmcnt(0)
	v_cvt_i32_f32_e32 v4, v4
	s_clause 0x1
	global_store_b128 v8, v[0:3], s[0:1]
	global_store_b32 v8, v4, s[0:1] offset:16
	s_nop 0
	s_sendmsg sendmsg(MSG_DEALLOC_VGPRS)
	s_endpgm
	.section	.rodata,"a",@progbits
	.p2align	6, 0x0
	.amdhsa_kernel _Z25scatter_to_blocked_kernelIfiLj165ELj5EEvPT_PT0_Pj
		.amdhsa_group_segment_fixed_size 672
		.amdhsa_private_segment_fixed_size 0
		.amdhsa_kernarg_size 24
		.amdhsa_user_sgpr_count 15
		.amdhsa_user_sgpr_dispatch_ptr 0
		.amdhsa_user_sgpr_queue_ptr 0
		.amdhsa_user_sgpr_kernarg_segment_ptr 1
		.amdhsa_user_sgpr_dispatch_id 0
		.amdhsa_user_sgpr_private_segment_size 0
		.amdhsa_wavefront_size32 1
		.amdhsa_uses_dynamic_stack 0
		.amdhsa_enable_private_segment 0
		.amdhsa_system_sgpr_workgroup_id_x 1
		.amdhsa_system_sgpr_workgroup_id_y 0
		.amdhsa_system_sgpr_workgroup_id_z 0
		.amdhsa_system_sgpr_workgroup_info 0
		.amdhsa_system_vgpr_workitem_id 0
		.amdhsa_next_free_vgpr 11
		.amdhsa_next_free_sgpr 16
		.amdhsa_reserve_vcc 0
		.amdhsa_float_round_mode_32 0
		.amdhsa_float_round_mode_16_64 0
		.amdhsa_float_denorm_mode_32 3
		.amdhsa_float_denorm_mode_16_64 3
		.amdhsa_dx10_clamp 1
		.amdhsa_ieee_mode 1
		.amdhsa_fp16_overflow 0
		.amdhsa_workgroup_processor_mode 1
		.amdhsa_memory_ordered 1
		.amdhsa_forward_progress 0
		.amdhsa_shared_vgpr_count 0
		.amdhsa_exception_fp_ieee_invalid_op 0
		.amdhsa_exception_fp_denorm_src 0
		.amdhsa_exception_fp_ieee_div_zero 0
		.amdhsa_exception_fp_ieee_overflow 0
		.amdhsa_exception_fp_ieee_underflow 0
		.amdhsa_exception_fp_ieee_inexact 0
		.amdhsa_exception_int_div_zero 0
	.end_amdhsa_kernel
	.section	.text._Z25scatter_to_blocked_kernelIfiLj165ELj5EEvPT_PT0_Pj,"axG",@progbits,_Z25scatter_to_blocked_kernelIfiLj165ELj5EEvPT_PT0_Pj,comdat
.Lfunc_end79:
	.size	_Z25scatter_to_blocked_kernelIfiLj165ELj5EEvPT_PT0_Pj, .Lfunc_end79-_Z25scatter_to_blocked_kernelIfiLj165ELj5EEvPT_PT0_Pj
                                        ; -- End function
	.section	.AMDGPU.csdata,"",@progbits
; Kernel info:
; codeLenInByte = 292
; NumSgprs: 16
; NumVgprs: 11
; ScratchSize: 0
; MemoryBound: 0
; FloatMode: 240
; IeeeMode: 1
; LDSByteSize: 672 bytes/workgroup (compile time only)
; SGPRBlocks: 1
; VGPRBlocks: 1
; NumSGPRsForWavesPerEU: 16
; NumVGPRsForWavesPerEU: 11
; Occupancy: 16
; WaveLimiterHint : 0
; COMPUTE_PGM_RSRC2:SCRATCH_EN: 0
; COMPUTE_PGM_RSRC2:USER_SGPR: 15
; COMPUTE_PGM_RSRC2:TRAP_HANDLER: 0
; COMPUTE_PGM_RSRC2:TGID_X_EN: 1
; COMPUTE_PGM_RSRC2:TGID_Y_EN: 0
; COMPUTE_PGM_RSRC2:TGID_Z_EN: 0
; COMPUTE_PGM_RSRC2:TIDIG_COMP_CNT: 0
	.section	.text._Z25scatter_to_blocked_kernelIidLj165ELj5EEvPT_PT0_Pj,"axG",@progbits,_Z25scatter_to_blocked_kernelIidLj165ELj5EEvPT_PT0_Pj,comdat
	.protected	_Z25scatter_to_blocked_kernelIidLj165ELj5EEvPT_PT0_Pj ; -- Begin function _Z25scatter_to_blocked_kernelIidLj165ELj5EEvPT_PT0_Pj
	.globl	_Z25scatter_to_blocked_kernelIidLj165ELj5EEvPT_PT0_Pj
	.p2align	8
	.type	_Z25scatter_to_blocked_kernelIidLj165ELj5EEvPT_PT0_Pj,@function
_Z25scatter_to_blocked_kernelIidLj165ELj5EEvPT_PT0_Pj: ; @_Z25scatter_to_blocked_kernelIidLj165ELj5EEvPT_PT0_Pj
; %bb.0:
	s_clause 0x1
	s_load_b128 s[4:7], s[0:1], 0x0
	s_load_b64 s[0:1], s[0:1], 0x10
	v_mul_u32_u24_e32 v10, 5, v0
	s_mov_b32 s3, 0
	s_mul_i32 s2, s15, 0xa5
	s_delay_alu instid0(SALU_CYCLE_1) | instskip(NEXT) | instid1(VALU_DEP_1)
	s_lshl_b64 s[8:9], s[2:3], 2
	v_lshlrev_b32_e32 v8, 2, v10
	v_lshlrev_b32_e32 v10, 3, v10
	s_waitcnt lgkmcnt(0)
	s_add_u32 s4, s4, s8
	s_addc_u32 s5, s5, s9
	s_add_u32 s0, s0, s8
	s_addc_u32 s1, s1, s9
	s_clause 0x3
	global_load_b128 v[0:3], v8, s[0:1]
	global_load_b32 v9, v8, s[0:1] offset:16
	global_load_b128 v[4:7], v8, s[4:5]
	global_load_b32 v11, v8, s[4:5] offset:16
	s_lshl_b64 s[0:1], s[2:3], 3
	s_delay_alu instid0(SALU_CYCLE_1)
	s_add_u32 s0, s6, s0
	s_addc_u32 s1, s7, s1
	s_waitcnt vmcnt(3)
	v_lshlrev_b32_e32 v0, 2, v0
	v_lshlrev_b32_e32 v1, 2, v1
	;; [unrolled: 1-line block ×4, first 2 shown]
	s_waitcnt vmcnt(2)
	v_lshlrev_b32_e32 v9, 2, v9
	s_waitcnt vmcnt(1)
	ds_store_b32 v0, v4
	ds_store_b32 v1, v5
	;; [unrolled: 1-line block ×4, first 2 shown]
	s_waitcnt vmcnt(0)
	ds_store_b32 v9, v11
	s_waitcnt lgkmcnt(0)
	s_barrier
	buffer_gl0_inv
	ds_load_2addr_b32 v[1:2], v8 offset1:1
	ds_load_2addr_b32 v[5:6], v8 offset0:2 offset1:3
	ds_load_b32 v8, v8 offset:16
	s_waitcnt lgkmcnt(2)
	v_cvt_f64_i32_e32 v[0:1], v1
	v_cvt_f64_i32_e32 v[2:3], v2
	s_waitcnt lgkmcnt(1)
	v_cvt_f64_i32_e32 v[4:5], v5
	v_cvt_f64_i32_e32 v[6:7], v6
	s_waitcnt lgkmcnt(0)
	v_cvt_f64_i32_e32 v[8:9], v8
	s_clause 0x2
	global_store_b128 v10, v[0:3], s[0:1]
	global_store_b128 v10, v[4:7], s[0:1] offset:16
	global_store_b64 v10, v[8:9], s[0:1] offset:32
	s_nop 0
	s_sendmsg sendmsg(MSG_DEALLOC_VGPRS)
	s_endpgm
	.section	.rodata,"a",@progbits
	.p2align	6, 0x0
	.amdhsa_kernel _Z25scatter_to_blocked_kernelIidLj165ELj5EEvPT_PT0_Pj
		.amdhsa_group_segment_fixed_size 672
		.amdhsa_private_segment_fixed_size 0
		.amdhsa_kernarg_size 24
		.amdhsa_user_sgpr_count 15
		.amdhsa_user_sgpr_dispatch_ptr 0
		.amdhsa_user_sgpr_queue_ptr 0
		.amdhsa_user_sgpr_kernarg_segment_ptr 1
		.amdhsa_user_sgpr_dispatch_id 0
		.amdhsa_user_sgpr_private_segment_size 0
		.amdhsa_wavefront_size32 1
		.amdhsa_uses_dynamic_stack 0
		.amdhsa_enable_private_segment 0
		.amdhsa_system_sgpr_workgroup_id_x 1
		.amdhsa_system_sgpr_workgroup_id_y 0
		.amdhsa_system_sgpr_workgroup_id_z 0
		.amdhsa_system_sgpr_workgroup_info 0
		.amdhsa_system_vgpr_workitem_id 0
		.amdhsa_next_free_vgpr 12
		.amdhsa_next_free_sgpr 16
		.amdhsa_reserve_vcc 0
		.amdhsa_float_round_mode_32 0
		.amdhsa_float_round_mode_16_64 0
		.amdhsa_float_denorm_mode_32 3
		.amdhsa_float_denorm_mode_16_64 3
		.amdhsa_dx10_clamp 1
		.amdhsa_ieee_mode 1
		.amdhsa_fp16_overflow 0
		.amdhsa_workgroup_processor_mode 1
		.amdhsa_memory_ordered 1
		.amdhsa_forward_progress 0
		.amdhsa_shared_vgpr_count 0
		.amdhsa_exception_fp_ieee_invalid_op 0
		.amdhsa_exception_fp_denorm_src 0
		.amdhsa_exception_fp_ieee_div_zero 0
		.amdhsa_exception_fp_ieee_overflow 0
		.amdhsa_exception_fp_ieee_underflow 0
		.amdhsa_exception_fp_ieee_inexact 0
		.amdhsa_exception_int_div_zero 0
	.end_amdhsa_kernel
	.section	.text._Z25scatter_to_blocked_kernelIidLj165ELj5EEvPT_PT0_Pj,"axG",@progbits,_Z25scatter_to_blocked_kernelIidLj165ELj5EEvPT_PT0_Pj,comdat
.Lfunc_end80:
	.size	_Z25scatter_to_blocked_kernelIidLj165ELj5EEvPT_PT0_Pj, .Lfunc_end80-_Z25scatter_to_blocked_kernelIidLj165ELj5EEvPT_PT0_Pj
                                        ; -- End function
	.section	.AMDGPU.csdata,"",@progbits
; Kernel info:
; codeLenInByte = 312
; NumSgprs: 16
; NumVgprs: 12
; ScratchSize: 0
; MemoryBound: 0
; FloatMode: 240
; IeeeMode: 1
; LDSByteSize: 672 bytes/workgroup (compile time only)
; SGPRBlocks: 1
; VGPRBlocks: 1
; NumSGPRsForWavesPerEU: 16
; NumVGPRsForWavesPerEU: 12
; Occupancy: 16
; WaveLimiterHint : 0
; COMPUTE_PGM_RSRC2:SCRATCH_EN: 0
; COMPUTE_PGM_RSRC2:USER_SGPR: 15
; COMPUTE_PGM_RSRC2:TRAP_HANDLER: 0
; COMPUTE_PGM_RSRC2:TGID_X_EN: 1
; COMPUTE_PGM_RSRC2:TGID_Y_EN: 0
; COMPUTE_PGM_RSRC2:TGID_Z_EN: 0
; COMPUTE_PGM_RSRC2:TIDIG_COMP_CNT: 0
	.section	.text._Z25scatter_to_blocked_kernelIyyLj192ELj3EEvPT_PT0_Pj,"axG",@progbits,_Z25scatter_to_blocked_kernelIyyLj192ELj3EEvPT_PT0_Pj,comdat
	.protected	_Z25scatter_to_blocked_kernelIyyLj192ELj3EEvPT_PT0_Pj ; -- Begin function _Z25scatter_to_blocked_kernelIyyLj192ELj3EEvPT_PT0_Pj
	.globl	_Z25scatter_to_blocked_kernelIyyLj192ELj3EEvPT_PT0_Pj
	.p2align	8
	.type	_Z25scatter_to_blocked_kernelIyyLj192ELj3EEvPT_PT0_Pj,@function
_Z25scatter_to_blocked_kernelIyyLj192ELj3EEvPT_PT0_Pj: ; @_Z25scatter_to_blocked_kernelIyyLj192ELj3EEvPT_PT0_Pj
; %bb.0:
	s_clause 0x1
	s_load_b128 s[4:7], s[0:1], 0x0
	s_load_b64 s[0:1], s[0:1], 0x10
	v_mul_u32_u24_e32 v0, 3, v0
	s_mov_b32 s3, 0
	s_mul_i32 s2, s15, 0xc0
	s_delay_alu instid0(SALU_CYCLE_1) | instskip(NEXT) | instid1(VALU_DEP_1)
	s_lshl_b64 s[8:9], s[2:3], 3
	v_lshlrev_b32_e32 v1, 2, v0
	v_lshlrev_b32_e32 v9, 3, v0
	s_waitcnt lgkmcnt(0)
	s_add_u32 s4, s4, s8
	s_addc_u32 s5, s5, s9
	s_lshl_b64 s[2:3], s[2:3], 2
	s_delay_alu instid0(SALU_CYCLE_1)
	s_add_u32 s0, s0, s2
	s_addc_u32 s1, s1, s3
	global_load_b96 v[4:6], v1, s[0:1]
	s_clause 0x1
	global_load_b128 v[0:3], v9, s[4:5]
	global_load_b64 v[7:8], v9, s[4:5] offset:16
	s_add_u32 s0, s6, s8
	s_addc_u32 s1, s7, s9
	s_waitcnt vmcnt(2)
	v_lshlrev_b32_e32 v4, 3, v4
	v_lshlrev_b32_e32 v5, 3, v5
	;; [unrolled: 1-line block ×3, first 2 shown]
	s_waitcnt vmcnt(1)
	ds_store_b64 v4, v[0:1]
	ds_store_b64 v5, v[2:3]
	s_waitcnt vmcnt(0)
	ds_store_b64 v6, v[7:8]
	s_waitcnt lgkmcnt(0)
	s_barrier
	buffer_gl0_inv
	ds_load_2addr_b64 v[0:3], v9 offset1:1
	ds_load_b64 v[4:5], v9 offset:16
	s_waitcnt lgkmcnt(1)
	global_store_b128 v9, v[0:3], s[0:1]
	s_waitcnt lgkmcnt(0)
	global_store_b64 v9, v[4:5], s[0:1] offset:16
	s_nop 0
	s_sendmsg sendmsg(MSG_DEALLOC_VGPRS)
	s_endpgm
	.section	.rodata,"a",@progbits
	.p2align	6, 0x0
	.amdhsa_kernel _Z25scatter_to_blocked_kernelIyyLj192ELj3EEvPT_PT0_Pj
		.amdhsa_group_segment_fixed_size 1536
		.amdhsa_private_segment_fixed_size 0
		.amdhsa_kernarg_size 24
		.amdhsa_user_sgpr_count 15
		.amdhsa_user_sgpr_dispatch_ptr 0
		.amdhsa_user_sgpr_queue_ptr 0
		.amdhsa_user_sgpr_kernarg_segment_ptr 1
		.amdhsa_user_sgpr_dispatch_id 0
		.amdhsa_user_sgpr_private_segment_size 0
		.amdhsa_wavefront_size32 1
		.amdhsa_uses_dynamic_stack 0
		.amdhsa_enable_private_segment 0
		.amdhsa_system_sgpr_workgroup_id_x 1
		.amdhsa_system_sgpr_workgroup_id_y 0
		.amdhsa_system_sgpr_workgroup_id_z 0
		.amdhsa_system_sgpr_workgroup_info 0
		.amdhsa_system_vgpr_workitem_id 0
		.amdhsa_next_free_vgpr 10
		.amdhsa_next_free_sgpr 16
		.amdhsa_reserve_vcc 0
		.amdhsa_float_round_mode_32 0
		.amdhsa_float_round_mode_16_64 0
		.amdhsa_float_denorm_mode_32 3
		.amdhsa_float_denorm_mode_16_64 3
		.amdhsa_dx10_clamp 1
		.amdhsa_ieee_mode 1
		.amdhsa_fp16_overflow 0
		.amdhsa_workgroup_processor_mode 1
		.amdhsa_memory_ordered 1
		.amdhsa_forward_progress 0
		.amdhsa_shared_vgpr_count 0
		.amdhsa_exception_fp_ieee_invalid_op 0
		.amdhsa_exception_fp_denorm_src 0
		.amdhsa_exception_fp_ieee_div_zero 0
		.amdhsa_exception_fp_ieee_overflow 0
		.amdhsa_exception_fp_ieee_underflow 0
		.amdhsa_exception_fp_ieee_inexact 0
		.amdhsa_exception_int_div_zero 0
	.end_amdhsa_kernel
	.section	.text._Z25scatter_to_blocked_kernelIyyLj192ELj3EEvPT_PT0_Pj,"axG",@progbits,_Z25scatter_to_blocked_kernelIyyLj192ELj3EEvPT_PT0_Pj,comdat
.Lfunc_end81:
	.size	_Z25scatter_to_blocked_kernelIyyLj192ELj3EEvPT_PT0_Pj, .Lfunc_end81-_Z25scatter_to_blocked_kernelIyyLj192ELj3EEvPT_PT0_Pj
                                        ; -- End function
	.section	.AMDGPU.csdata,"",@progbits
; Kernel info:
; codeLenInByte = 232
; NumSgprs: 16
; NumVgprs: 10
; ScratchSize: 0
; MemoryBound: 1
; FloatMode: 240
; IeeeMode: 1
; LDSByteSize: 1536 bytes/workgroup (compile time only)
; SGPRBlocks: 1
; VGPRBlocks: 1
; NumSGPRsForWavesPerEU: 16
; NumVGPRsForWavesPerEU: 10
; Occupancy: 16
; WaveLimiterHint : 1
; COMPUTE_PGM_RSRC2:SCRATCH_EN: 0
; COMPUTE_PGM_RSRC2:USER_SGPR: 15
; COMPUTE_PGM_RSRC2:TRAP_HANDLER: 0
; COMPUTE_PGM_RSRC2:TGID_X_EN: 1
; COMPUTE_PGM_RSRC2:TGID_Y_EN: 0
; COMPUTE_PGM_RSRC2:TGID_Z_EN: 0
; COMPUTE_PGM_RSRC2:TIDIG_COMP_CNT: 0
	.section	.text._Z25scatter_to_blocked_kernelIiiLj384ELj3EEvPT_PT0_Pj,"axG",@progbits,_Z25scatter_to_blocked_kernelIiiLj384ELj3EEvPT_PT0_Pj,comdat
	.protected	_Z25scatter_to_blocked_kernelIiiLj384ELj3EEvPT_PT0_Pj ; -- Begin function _Z25scatter_to_blocked_kernelIiiLj384ELj3EEvPT_PT0_Pj
	.globl	_Z25scatter_to_blocked_kernelIiiLj384ELj3EEvPT_PT0_Pj
	.p2align	8
	.type	_Z25scatter_to_blocked_kernelIiiLj384ELj3EEvPT_PT0_Pj,@function
_Z25scatter_to_blocked_kernelIiiLj384ELj3EEvPT_PT0_Pj: ; @_Z25scatter_to_blocked_kernelIiiLj384ELj3EEvPT_PT0_Pj
; %bb.0:
	s_clause 0x1
	s_load_b128 s[4:7], s[0:1], 0x0
	s_load_b64 s[0:1], s[0:1], 0x10
	v_mul_u32_u24_e32 v0, 3, v0
	s_mov_b32 s3, 0
	s_mul_i32 s2, s15, 0x180
	s_delay_alu instid0(SALU_CYCLE_1) | instskip(NEXT) | instid1(VALU_DEP_1)
	s_lshl_b64 s[2:3], s[2:3], 2
	v_lshlrev_b32_e32 v6, 2, v0
	s_waitcnt lgkmcnt(0)
	s_add_u32 s4, s4, s2
	s_addc_u32 s5, s5, s3
	s_add_u32 s0, s0, s2
	s_addc_u32 s1, s1, s3
	s_clause 0x1
	global_load_b96 v[0:2], v6, s[0:1]
	global_load_b96 v[3:5], v6, s[4:5]
	s_add_u32 s0, s6, s2
	s_addc_u32 s1, s7, s3
	s_waitcnt vmcnt(1)
	v_lshlrev_b32_e32 v0, 2, v0
	v_lshlrev_b32_e32 v1, 2, v1
	;; [unrolled: 1-line block ×3, first 2 shown]
	s_waitcnt vmcnt(0)
	ds_store_b32 v0, v3
	ds_store_b32 v1, v4
	;; [unrolled: 1-line block ×3, first 2 shown]
	s_waitcnt lgkmcnt(0)
	s_barrier
	buffer_gl0_inv
	ds_load_2addr_b32 v[0:1], v6 offset1:1
	ds_load_b32 v2, v6 offset:8
	s_waitcnt lgkmcnt(0)
	global_store_b96 v6, v[0:2], s[0:1]
	s_nop 0
	s_sendmsg sendmsg(MSG_DEALLOC_VGPRS)
	s_endpgm
	.section	.rodata,"a",@progbits
	.p2align	6, 0x0
	.amdhsa_kernel _Z25scatter_to_blocked_kernelIiiLj384ELj3EEvPT_PT0_Pj
		.amdhsa_group_segment_fixed_size 1536
		.amdhsa_private_segment_fixed_size 0
		.amdhsa_kernarg_size 24
		.amdhsa_user_sgpr_count 15
		.amdhsa_user_sgpr_dispatch_ptr 0
		.amdhsa_user_sgpr_queue_ptr 0
		.amdhsa_user_sgpr_kernarg_segment_ptr 1
		.amdhsa_user_sgpr_dispatch_id 0
		.amdhsa_user_sgpr_private_segment_size 0
		.amdhsa_wavefront_size32 1
		.amdhsa_uses_dynamic_stack 0
		.amdhsa_enable_private_segment 0
		.amdhsa_system_sgpr_workgroup_id_x 1
		.amdhsa_system_sgpr_workgroup_id_y 0
		.amdhsa_system_sgpr_workgroup_id_z 0
		.amdhsa_system_sgpr_workgroup_info 0
		.amdhsa_system_vgpr_workitem_id 0
		.amdhsa_next_free_vgpr 7
		.amdhsa_next_free_sgpr 16
		.amdhsa_reserve_vcc 0
		.amdhsa_float_round_mode_32 0
		.amdhsa_float_round_mode_16_64 0
		.amdhsa_float_denorm_mode_32 3
		.amdhsa_float_denorm_mode_16_64 3
		.amdhsa_dx10_clamp 1
		.amdhsa_ieee_mode 1
		.amdhsa_fp16_overflow 0
		.amdhsa_workgroup_processor_mode 1
		.amdhsa_memory_ordered 1
		.amdhsa_forward_progress 0
		.amdhsa_shared_vgpr_count 0
		.amdhsa_exception_fp_ieee_invalid_op 0
		.amdhsa_exception_fp_denorm_src 0
		.amdhsa_exception_fp_ieee_div_zero 0
		.amdhsa_exception_fp_ieee_overflow 0
		.amdhsa_exception_fp_ieee_underflow 0
		.amdhsa_exception_fp_ieee_inexact 0
		.amdhsa_exception_int_div_zero 0
	.end_amdhsa_kernel
	.section	.text._Z25scatter_to_blocked_kernelIiiLj384ELj3EEvPT_PT0_Pj,"axG",@progbits,_Z25scatter_to_blocked_kernelIiiLj384ELj3EEvPT_PT0_Pj,comdat
.Lfunc_end82:
	.size	_Z25scatter_to_blocked_kernelIiiLj384ELj3EEvPT_PT0_Pj, .Lfunc_end82-_Z25scatter_to_blocked_kernelIiiLj384ELj3EEvPT_PT0_Pj
                                        ; -- End function
	.section	.AMDGPU.csdata,"",@progbits
; Kernel info:
; codeLenInByte = 196
; NumSgprs: 16
; NumVgprs: 7
; ScratchSize: 0
; MemoryBound: 0
; FloatMode: 240
; IeeeMode: 1
; LDSByteSize: 1536 bytes/workgroup (compile time only)
; SGPRBlocks: 1
; VGPRBlocks: 0
; NumSGPRsForWavesPerEU: 16
; NumVGPRsForWavesPerEU: 7
; Occupancy: 16
; WaveLimiterHint : 0
; COMPUTE_PGM_RSRC2:SCRATCH_EN: 0
; COMPUTE_PGM_RSRC2:USER_SGPR: 15
; COMPUTE_PGM_RSRC2:TRAP_HANDLER: 0
; COMPUTE_PGM_RSRC2:TGID_X_EN: 1
; COMPUTE_PGM_RSRC2:TGID_Y_EN: 0
; COMPUTE_PGM_RSRC2:TGID_Z_EN: 0
; COMPUTE_PGM_RSRC2:TIDIG_COMP_CNT: 0
	.section	.text._Z25scatter_to_blocked_kernelIs5dummyIfELj896ELj7EEvPT_PT0_Pj,"axG",@progbits,_Z25scatter_to_blocked_kernelIs5dummyIfELj896ELj7EEvPT_PT0_Pj,comdat
	.protected	_Z25scatter_to_blocked_kernelIs5dummyIfELj896ELj7EEvPT_PT0_Pj ; -- Begin function _Z25scatter_to_blocked_kernelIs5dummyIfELj896ELj7EEvPT_PT0_Pj
	.globl	_Z25scatter_to_blocked_kernelIs5dummyIfELj896ELj7EEvPT_PT0_Pj
	.p2align	8
	.type	_Z25scatter_to_blocked_kernelIs5dummyIfELj896ELj7EEvPT_PT0_Pj,@function
_Z25scatter_to_blocked_kernelIs5dummyIfELj896ELj7EEvPT_PT0_Pj: ; @_Z25scatter_to_blocked_kernelIs5dummyIfELj896ELj7EEvPT_PT0_Pj
; %bb.0:
	s_clause 0x1
	s_load_b128 s[4:7], s[0:1], 0x0
	s_load_b64 s[0:1], s[0:1], 0x10
	v_mul_u32_u24_e32 v10, 7, v0
	s_mov_b32 s3, 0
	s_mul_i32 s2, s15, 0x380
	s_delay_alu instid0(SALU_CYCLE_1) | instskip(NEXT) | instid1(VALU_DEP_1)
	s_lshl_b64 s[8:9], s[2:3], 1
	v_lshlrev_b32_e32 v4, 2, v10
	v_lshlrev_b32_e32 v11, 1, v10
	;; [unrolled: 1-line block ×3, first 2 shown]
	s_waitcnt lgkmcnt(0)
	s_add_u32 s4, s4, s8
	s_addc_u32 s5, s5, s9
	s_lshl_b64 s[8:9], s[2:3], 2
	s_delay_alu instid0(SALU_CYCLE_1)
	s_add_u32 s0, s0, s8
	s_addc_u32 s1, s1, s9
	s_clause 0x1
	global_load_b128 v[0:3], v4, s[0:1]
	global_load_b96 v[4:6], v4, s[0:1] offset:16
	s_clause 0x1
	global_load_b96 v[7:9], v11, s[4:5]
	global_load_u16 v12, v11, s[4:5] offset:12
	s_lshl_b64 s[0:1], s[2:3], 3
	s_delay_alu instid0(SALU_CYCLE_1)
	s_add_u32 s0, s6, s0
	s_addc_u32 s1, s7, s1
	s_waitcnt vmcnt(2)
	v_lshlrev_b32_e32 v4, 1, v4
	v_lshlrev_b32_e32 v0, 1, v0
	;; [unrolled: 1-line block ×7, first 2 shown]
	s_waitcnt vmcnt(1)
	ds_store_b16 v0, v7
	ds_store_b16_d16_hi v1, v7
	ds_store_b16 v2, v8
	ds_store_b16_d16_hi v3, v8
	ds_store_b16 v4, v9
	ds_store_b16_d16_hi v5, v9
	s_waitcnt vmcnt(0)
	ds_store_b16 v6, v12
	s_waitcnt lgkmcnt(0)
	s_barrier
	buffer_gl0_inv
	ds_load_b96 v[0:2], v11
	ds_load_i16 v3, v11 offset:12
	s_waitcnt lgkmcnt(1)
	v_bfe_i32 v4, v0, 0, 16
	v_ashrrev_i32_e32 v0, 16, v0
	v_bfe_i32 v5, v1, 0, 16
	v_ashrrev_i32_e32 v1, 16, v1
	;; [unrolled: 2-line block ×3, first 2 shown]
	s_waitcnt lgkmcnt(0)
	v_add_nc_u32_e32 v7, 1, v3
	v_lshlrev_b32_e32 v3, 1, v3
	v_add_nc_u32_e32 v8, 1, v4
	v_lshlrev_b32_e32 v4, 1, v4
	v_add_nc_u32_e32 v9, 1, v0
	v_lshlrev_b32_e32 v10, 1, v0
	v_add_nc_u32_e32 v11, 1, v5
	v_lshlrev_b32_e32 v5, 1, v5
	v_add_nc_u32_e32 v15, 1, v1
	v_lshlrev_b32_e32 v16, 1, v1
	v_add_nc_u32_e32 v17, 1, v6
	v_lshlrev_b32_e32 v18, 1, v6
	v_add_nc_u32_e32 v19, 1, v2
	v_lshlrev_b32_e32 v20, 1, v2
	v_cvt_f32_i32_e32 v13, v3
	v_cvt_f32_i32_e32 v0, v8
	;; [unrolled: 1-line block ×14, first 2 shown]
	s_clause 0x3
	global_store_b128 v14, v[0:3], s[0:1]
	global_store_b128 v14, v[4:7], s[0:1] offset:16
	global_store_b128 v14, v[8:11], s[0:1] offset:32
	global_store_b64 v14, v[12:13], s[0:1] offset:48
	s_nop 0
	s_sendmsg sendmsg(MSG_DEALLOC_VGPRS)
	s_endpgm
	.section	.rodata,"a",@progbits
	.p2align	6, 0x0
	.amdhsa_kernel _Z25scatter_to_blocked_kernelIs5dummyIfELj896ELj7EEvPT_PT0_Pj
		.amdhsa_group_segment_fixed_size 1792
		.amdhsa_private_segment_fixed_size 0
		.amdhsa_kernarg_size 24
		.amdhsa_user_sgpr_count 15
		.amdhsa_user_sgpr_dispatch_ptr 0
		.amdhsa_user_sgpr_queue_ptr 0
		.amdhsa_user_sgpr_kernarg_segment_ptr 1
		.amdhsa_user_sgpr_dispatch_id 0
		.amdhsa_user_sgpr_private_segment_size 0
		.amdhsa_wavefront_size32 1
		.amdhsa_uses_dynamic_stack 0
		.amdhsa_enable_private_segment 0
		.amdhsa_system_sgpr_workgroup_id_x 1
		.amdhsa_system_sgpr_workgroup_id_y 0
		.amdhsa_system_sgpr_workgroup_id_z 0
		.amdhsa_system_sgpr_workgroup_info 0
		.amdhsa_system_vgpr_workitem_id 0
		.amdhsa_next_free_vgpr 21
		.amdhsa_next_free_sgpr 16
		.amdhsa_reserve_vcc 0
		.amdhsa_float_round_mode_32 0
		.amdhsa_float_round_mode_16_64 0
		.amdhsa_float_denorm_mode_32 3
		.amdhsa_float_denorm_mode_16_64 3
		.amdhsa_dx10_clamp 1
		.amdhsa_ieee_mode 1
		.amdhsa_fp16_overflow 0
		.amdhsa_workgroup_processor_mode 1
		.amdhsa_memory_ordered 1
		.amdhsa_forward_progress 0
		.amdhsa_shared_vgpr_count 0
		.amdhsa_exception_fp_ieee_invalid_op 0
		.amdhsa_exception_fp_denorm_src 0
		.amdhsa_exception_fp_ieee_div_zero 0
		.amdhsa_exception_fp_ieee_overflow 0
		.amdhsa_exception_fp_ieee_underflow 0
		.amdhsa_exception_fp_ieee_inexact 0
		.amdhsa_exception_int_div_zero 0
	.end_amdhsa_kernel
	.section	.text._Z25scatter_to_blocked_kernelIs5dummyIfELj896ELj7EEvPT_PT0_Pj,"axG",@progbits,_Z25scatter_to_blocked_kernelIs5dummyIfELj896ELj7EEvPT_PT0_Pj,comdat
.Lfunc_end83:
	.size	_Z25scatter_to_blocked_kernelIs5dummyIfELj896ELj7EEvPT_PT0_Pj, .Lfunc_end83-_Z25scatter_to_blocked_kernelIs5dummyIfELj896ELj7EEvPT_PT0_Pj
                                        ; -- End function
	.section	.AMDGPU.csdata,"",@progbits
; Kernel info:
; codeLenInByte = 472
; NumSgprs: 16
; NumVgprs: 21
; ScratchSize: 0
; MemoryBound: 0
; FloatMode: 240
; IeeeMode: 1
; LDSByteSize: 1792 bytes/workgroup (compile time only)
; SGPRBlocks: 1
; VGPRBlocks: 2
; NumSGPRsForWavesPerEU: 16
; NumVGPRsForWavesPerEU: 21
; Occupancy: 16
; WaveLimiterHint : 0
; COMPUTE_PGM_RSRC2:SCRATCH_EN: 0
; COMPUTE_PGM_RSRC2:USER_SGPR: 15
; COMPUTE_PGM_RSRC2:TRAP_HANDLER: 0
; COMPUTE_PGM_RSRC2:TGID_X_EN: 1
; COMPUTE_PGM_RSRC2:TGID_Y_EN: 0
; COMPUTE_PGM_RSRC2:TGID_Z_EN: 0
; COMPUTE_PGM_RSRC2:TIDIG_COMP_CNT: 0
	.section	.text._Z25scatter_to_blocked_kernelIiiLj2560ELj5EEvPT_PT0_Pj,"axG",@progbits,_Z25scatter_to_blocked_kernelIiiLj2560ELj5EEvPT_PT0_Pj,comdat
	.protected	_Z25scatter_to_blocked_kernelIiiLj2560ELj5EEvPT_PT0_Pj ; -- Begin function _Z25scatter_to_blocked_kernelIiiLj2560ELj5EEvPT_PT0_Pj
	.globl	_Z25scatter_to_blocked_kernelIiiLj2560ELj5EEvPT_PT0_Pj
	.p2align	8
	.type	_Z25scatter_to_blocked_kernelIiiLj2560ELj5EEvPT_PT0_Pj,@function
_Z25scatter_to_blocked_kernelIiiLj2560ELj5EEvPT_PT0_Pj: ; @_Z25scatter_to_blocked_kernelIiiLj2560ELj5EEvPT_PT0_Pj
; %bb.0:
	s_clause 0x1
	s_load_b128 s[4:7], s[0:1], 0x0
	s_load_b64 s[0:1], s[0:1], 0x10
	v_mul_u32_u24_e32 v0, 5, v0
	s_mov_b32 s3, 0
	s_mul_i32 s2, s15, 0xa00
	s_delay_alu instid0(SALU_CYCLE_1) | instskip(NEXT) | instid1(VALU_DEP_1)
	s_lshl_b64 s[2:3], s[2:3], 2
	v_lshlrev_b32_e32 v8, 2, v0
	s_waitcnt lgkmcnt(0)
	s_add_u32 s4, s4, s2
	s_addc_u32 s5, s5, s3
	s_add_u32 s0, s0, s2
	s_addc_u32 s1, s1, s3
	s_clause 0x3
	global_load_b128 v[0:3], v8, s[0:1]
	global_load_b32 v9, v8, s[0:1] offset:16
	global_load_b128 v[4:7], v8, s[4:5]
	global_load_b32 v10, v8, s[4:5] offset:16
	s_add_u32 s0, s6, s2
	s_addc_u32 s1, s7, s3
	s_waitcnt vmcnt(3)
	v_lshlrev_b32_e32 v0, 2, v0
	v_lshlrev_b32_e32 v1, 2, v1
	;; [unrolled: 1-line block ×4, first 2 shown]
	s_waitcnt vmcnt(2)
	v_lshlrev_b32_e32 v9, 2, v9
	s_waitcnt vmcnt(1)
	ds_store_b32 v0, v4
	ds_store_b32 v1, v5
	;; [unrolled: 1-line block ×4, first 2 shown]
	s_waitcnt vmcnt(0)
	ds_store_b32 v9, v10
	s_waitcnt lgkmcnt(0)
	s_barrier
	buffer_gl0_inv
	ds_load_2addr_b32 v[0:1], v8 offset1:1
	ds_load_2addr_b32 v[2:3], v8 offset0:2 offset1:3
	ds_load_b32 v4, v8 offset:16
	s_waitcnt lgkmcnt(1)
	global_store_b128 v8, v[0:3], s[0:1]
	s_waitcnt lgkmcnt(0)
	global_store_b32 v8, v4, s[0:1] offset:16
	s_nop 0
	s_sendmsg sendmsg(MSG_DEALLOC_VGPRS)
	s_endpgm
	.section	.rodata,"a",@progbits
	.p2align	6, 0x0
	.amdhsa_kernel _Z25scatter_to_blocked_kernelIiiLj2560ELj5EEvPT_PT0_Pj
		.amdhsa_group_segment_fixed_size 10240
		.amdhsa_private_segment_fixed_size 0
		.amdhsa_kernarg_size 24
		.amdhsa_user_sgpr_count 15
		.amdhsa_user_sgpr_dispatch_ptr 0
		.amdhsa_user_sgpr_queue_ptr 0
		.amdhsa_user_sgpr_kernarg_segment_ptr 1
		.amdhsa_user_sgpr_dispatch_id 0
		.amdhsa_user_sgpr_private_segment_size 0
		.amdhsa_wavefront_size32 1
		.amdhsa_uses_dynamic_stack 0
		.amdhsa_enable_private_segment 0
		.amdhsa_system_sgpr_workgroup_id_x 1
		.amdhsa_system_sgpr_workgroup_id_y 0
		.amdhsa_system_sgpr_workgroup_id_z 0
		.amdhsa_system_sgpr_workgroup_info 0
		.amdhsa_system_vgpr_workitem_id 0
		.amdhsa_next_free_vgpr 11
		.amdhsa_next_free_sgpr 16
		.amdhsa_reserve_vcc 0
		.amdhsa_float_round_mode_32 0
		.amdhsa_float_round_mode_16_64 0
		.amdhsa_float_denorm_mode_32 3
		.amdhsa_float_denorm_mode_16_64 3
		.amdhsa_dx10_clamp 1
		.amdhsa_ieee_mode 1
		.amdhsa_fp16_overflow 0
		.amdhsa_workgroup_processor_mode 1
		.amdhsa_memory_ordered 1
		.amdhsa_forward_progress 0
		.amdhsa_shared_vgpr_count 0
		.amdhsa_exception_fp_ieee_invalid_op 0
		.amdhsa_exception_fp_denorm_src 0
		.amdhsa_exception_fp_ieee_div_zero 0
		.amdhsa_exception_fp_ieee_overflow 0
		.amdhsa_exception_fp_ieee_underflow 0
		.amdhsa_exception_fp_ieee_inexact 0
		.amdhsa_exception_int_div_zero 0
	.end_amdhsa_kernel
	.section	.text._Z25scatter_to_blocked_kernelIiiLj2560ELj5EEvPT_PT0_Pj,"axG",@progbits,_Z25scatter_to_blocked_kernelIiiLj2560ELj5EEvPT_PT0_Pj,comdat
.Lfunc_end84:
	.size	_Z25scatter_to_blocked_kernelIiiLj2560ELj5EEvPT_PT0_Pj, .Lfunc_end84-_Z25scatter_to_blocked_kernelIiiLj2560ELj5EEvPT_PT0_Pj
                                        ; -- End function
	.section	.AMDGPU.csdata,"",@progbits
; Kernel info:
; codeLenInByte = 264
; NumSgprs: 16
; NumVgprs: 11
; ScratchSize: 0
; MemoryBound: 0
; FloatMode: 240
; IeeeMode: 1
; LDSByteSize: 10240 bytes/workgroup (compile time only)
; SGPRBlocks: 1
; VGPRBlocks: 1
; NumSGPRsForWavesPerEU: 16
; NumVGPRsForWavesPerEU: 11
; Occupancy: 16
; WaveLimiterHint : 0
; COMPUTE_PGM_RSRC2:SCRATCH_EN: 0
; COMPUTE_PGM_RSRC2:USER_SGPR: 15
; COMPUTE_PGM_RSRC2:TRAP_HANDLER: 0
; COMPUTE_PGM_RSRC2:TGID_X_EN: 1
; COMPUTE_PGM_RSRC2:TGID_Y_EN: 0
; COMPUTE_PGM_RSRC2:TGID_Z_EN: 0
; COMPUTE_PGM_RSRC2:TIDIG_COMP_CNT: 0
	.section	.text._Z25scatter_to_blocked_kernelIxxLj1024ELj4EEvPT_PT0_Pj,"axG",@progbits,_Z25scatter_to_blocked_kernelIxxLj1024ELj4EEvPT_PT0_Pj,comdat
	.protected	_Z25scatter_to_blocked_kernelIxxLj1024ELj4EEvPT_PT0_Pj ; -- Begin function _Z25scatter_to_blocked_kernelIxxLj1024ELj4EEvPT_PT0_Pj
	.globl	_Z25scatter_to_blocked_kernelIxxLj1024ELj4EEvPT_PT0_Pj
	.p2align	8
	.type	_Z25scatter_to_blocked_kernelIxxLj1024ELj4EEvPT_PT0_Pj,@function
_Z25scatter_to_blocked_kernelIxxLj1024ELj4EEvPT_PT0_Pj: ; @_Z25scatter_to_blocked_kernelIxxLj1024ELj4EEvPT_PT0_Pj
; %bb.0:
	s_clause 0x1
	s_load_b128 s[4:7], s[0:1], 0x0
	s_load_b64 s[0:1], s[0:1], 0x10
	s_mov_b32 s3, 0
	s_lshl_b32 s2, s15, 10
	v_lshlrev_b32_e32 v1, 4, v0
	s_lshl_b64 s[8:9], s[2:3], 3
	v_lshlrev_b32_e32 v13, 5, v0
	v_lshlrev_b32_e32 v14, 2, v0
	v_lshrrev_b32_e32 v0, 3, v0
	s_delay_alu instid0(VALU_DEP_1) | instskip(SKIP_4) | instid1(SALU_CYCLE_1)
	v_add_lshl_u32 v14, v0, v14, 3
	s_waitcnt lgkmcnt(0)
	s_add_u32 s4, s4, s8
	s_addc_u32 s5, s5, s9
	s_lshl_b64 s[2:3], s[2:3], 2
	s_add_u32 s0, s0, s2
	s_addc_u32 s1, s1, s3
	global_load_b128 v[1:4], v1, s[0:1]
	s_clause 0x1
	global_load_b128 v[5:8], v13, s[4:5]
	global_load_b128 v[9:12], v13, s[4:5] offset:16
	s_add_u32 s0, s6, s8
	s_addc_u32 s1, s7, s9
	s_waitcnt vmcnt(2)
	v_lshrrev_b32_e32 v15, 5, v1
	v_lshrrev_b32_e32 v16, 5, v2
	;; [unrolled: 1-line block ×4, first 2 shown]
	s_delay_alu instid0(VALU_DEP_4) | instskip(NEXT) | instid1(VALU_DEP_4)
	v_add_lshl_u32 v1, v15, v1, 3
	v_add_lshl_u32 v2, v16, v2, 3
	s_delay_alu instid0(VALU_DEP_4) | instskip(NEXT) | instid1(VALU_DEP_4)
	v_add_lshl_u32 v3, v17, v3, 3
	v_add_lshl_u32 v4, v18, v4, 3
	s_waitcnt vmcnt(1)
	ds_store_b64 v1, v[5:6]
	ds_store_b64 v2, v[7:8]
	s_waitcnt vmcnt(0)
	ds_store_b64 v3, v[9:10]
	ds_store_b64 v4, v[11:12]
	s_waitcnt lgkmcnt(0)
	s_barrier
	buffer_gl0_inv
	ds_load_2addr_b64 v[0:3], v14 offset1:1
	ds_load_2addr_b64 v[4:7], v14 offset0:2 offset1:3
	s_waitcnt lgkmcnt(1)
	global_store_b128 v13, v[0:3], s[0:1]
	s_waitcnt lgkmcnt(0)
	global_store_b128 v13, v[4:7], s[0:1] offset:16
	s_nop 0
	s_sendmsg sendmsg(MSG_DEALLOC_VGPRS)
	s_endpgm
	.section	.rodata,"a",@progbits
	.p2align	6, 0x0
	.amdhsa_kernel _Z25scatter_to_blocked_kernelIxxLj1024ELj4EEvPT_PT0_Pj
		.amdhsa_group_segment_fixed_size 8448
		.amdhsa_private_segment_fixed_size 0
		.amdhsa_kernarg_size 24
		.amdhsa_user_sgpr_count 15
		.amdhsa_user_sgpr_dispatch_ptr 0
		.amdhsa_user_sgpr_queue_ptr 0
		.amdhsa_user_sgpr_kernarg_segment_ptr 1
		.amdhsa_user_sgpr_dispatch_id 0
		.amdhsa_user_sgpr_private_segment_size 0
		.amdhsa_wavefront_size32 1
		.amdhsa_uses_dynamic_stack 0
		.amdhsa_enable_private_segment 0
		.amdhsa_system_sgpr_workgroup_id_x 1
		.amdhsa_system_sgpr_workgroup_id_y 0
		.amdhsa_system_sgpr_workgroup_id_z 0
		.amdhsa_system_sgpr_workgroup_info 0
		.amdhsa_system_vgpr_workitem_id 0
		.amdhsa_next_free_vgpr 19
		.amdhsa_next_free_sgpr 16
		.amdhsa_reserve_vcc 0
		.amdhsa_float_round_mode_32 0
		.amdhsa_float_round_mode_16_64 0
		.amdhsa_float_denorm_mode_32 3
		.amdhsa_float_denorm_mode_16_64 3
		.amdhsa_dx10_clamp 1
		.amdhsa_ieee_mode 1
		.amdhsa_fp16_overflow 0
		.amdhsa_workgroup_processor_mode 1
		.amdhsa_memory_ordered 1
		.amdhsa_forward_progress 0
		.amdhsa_shared_vgpr_count 0
		.amdhsa_exception_fp_ieee_invalid_op 0
		.amdhsa_exception_fp_denorm_src 0
		.amdhsa_exception_fp_ieee_div_zero 0
		.amdhsa_exception_fp_ieee_overflow 0
		.amdhsa_exception_fp_ieee_underflow 0
		.amdhsa_exception_fp_ieee_inexact 0
		.amdhsa_exception_int_div_zero 0
	.end_amdhsa_kernel
	.section	.text._Z25scatter_to_blocked_kernelIxxLj1024ELj4EEvPT_PT0_Pj,"axG",@progbits,_Z25scatter_to_blocked_kernelIxxLj1024ELj4EEvPT_PT0_Pj,comdat
.Lfunc_end85:
	.size	_Z25scatter_to_blocked_kernelIxxLj1024ELj4EEvPT_PT0_Pj, .Lfunc_end85-_Z25scatter_to_blocked_kernelIxxLj1024ELj4EEvPT_PT0_Pj
                                        ; -- End function
	.section	.AMDGPU.csdata,"",@progbits
; Kernel info:
; codeLenInByte = 288
; NumSgprs: 16
; NumVgprs: 19
; ScratchSize: 0
; MemoryBound: 0
; FloatMode: 240
; IeeeMode: 1
; LDSByteSize: 8448 bytes/workgroup (compile time only)
; SGPRBlocks: 1
; VGPRBlocks: 2
; NumSGPRsForWavesPerEU: 16
; NumVGPRsForWavesPerEU: 19
; Occupancy: 16
; WaveLimiterHint : 0
; COMPUTE_PGM_RSRC2:SCRATCH_EN: 0
; COMPUTE_PGM_RSRC2:USER_SGPR: 15
; COMPUTE_PGM_RSRC2:TRAP_HANDLER: 0
; COMPUTE_PGM_RSRC2:TGID_X_EN: 1
; COMPUTE_PGM_RSRC2:TGID_Y_EN: 0
; COMPUTE_PGM_RSRC2:TGID_Z_EN: 0
; COMPUTE_PGM_RSRC2:TIDIG_COMP_CNT: 0
	.section	.text._Z25scatter_to_blocked_kernelIiiLj128ELj2EEvPT_PT0_Pj,"axG",@progbits,_Z25scatter_to_blocked_kernelIiiLj128ELj2EEvPT_PT0_Pj,comdat
	.protected	_Z25scatter_to_blocked_kernelIiiLj128ELj2EEvPT_PT0_Pj ; -- Begin function _Z25scatter_to_blocked_kernelIiiLj128ELj2EEvPT_PT0_Pj
	.globl	_Z25scatter_to_blocked_kernelIiiLj128ELj2EEvPT_PT0_Pj
	.p2align	8
	.type	_Z25scatter_to_blocked_kernelIiiLj128ELj2EEvPT_PT0_Pj,@function
_Z25scatter_to_blocked_kernelIiiLj128ELj2EEvPT_PT0_Pj: ; @_Z25scatter_to_blocked_kernelIiiLj128ELj2EEvPT_PT0_Pj
; %bb.0:
	s_clause 0x1
	s_load_b128 s[4:7], s[0:1], 0x0
	s_load_b64 s[0:1], s[0:1], 0x10
	s_mov_b32 s3, 0
	s_lshl_b32 s2, s15, 7
	v_lshlrev_b32_e32 v5, 3, v0
	s_lshl_b64 s[2:3], s[2:3], 2
	v_lshlrev_b32_e32 v8, 1, v0
	v_lshrrev_b32_e32 v0, 4, v0
	s_delay_alu instid0(VALU_DEP_1)
	v_add_lshl_u32 v0, v0, v8, 2
	s_waitcnt lgkmcnt(0)
	s_add_u32 s4, s4, s2
	s_addc_u32 s5, s5, s3
	s_add_u32 s0, s0, s2
	s_addc_u32 s1, s1, s3
	s_clause 0x1
	global_load_b64 v[1:2], v5, s[0:1]
	global_load_b64 v[3:4], v5, s[4:5]
	s_add_u32 s0, s6, s2
	s_addc_u32 s1, s7, s3
	s_waitcnt vmcnt(1)
	v_lshrrev_b32_e32 v6, 5, v1
	v_lshrrev_b32_e32 v7, 5, v2
	s_delay_alu instid0(VALU_DEP_2) | instskip(NEXT) | instid1(VALU_DEP_2)
	v_add_lshl_u32 v1, v6, v1, 2
	v_add_lshl_u32 v2, v7, v2, 2
	s_waitcnt vmcnt(0)
	ds_store_b32 v1, v3
	ds_store_b32 v2, v4
	s_waitcnt lgkmcnt(0)
	s_barrier
	buffer_gl0_inv
	ds_load_2addr_b32 v[0:1], v0 offset1:1
	s_waitcnt lgkmcnt(0)
	global_store_b64 v5, v[0:1], s[0:1]
	s_nop 0
	s_sendmsg sendmsg(MSG_DEALLOC_VGPRS)
	s_endpgm
	.section	.rodata,"a",@progbits
	.p2align	6, 0x0
	.amdhsa_kernel _Z25scatter_to_blocked_kernelIiiLj128ELj2EEvPT_PT0_Pj
		.amdhsa_group_segment_fixed_size 528
		.amdhsa_private_segment_fixed_size 0
		.amdhsa_kernarg_size 24
		.amdhsa_user_sgpr_count 15
		.amdhsa_user_sgpr_dispatch_ptr 0
		.amdhsa_user_sgpr_queue_ptr 0
		.amdhsa_user_sgpr_kernarg_segment_ptr 1
		.amdhsa_user_sgpr_dispatch_id 0
		.amdhsa_user_sgpr_private_segment_size 0
		.amdhsa_wavefront_size32 1
		.amdhsa_uses_dynamic_stack 0
		.amdhsa_enable_private_segment 0
		.amdhsa_system_sgpr_workgroup_id_x 1
		.amdhsa_system_sgpr_workgroup_id_y 0
		.amdhsa_system_sgpr_workgroup_id_z 0
		.amdhsa_system_sgpr_workgroup_info 0
		.amdhsa_system_vgpr_workitem_id 0
		.amdhsa_next_free_vgpr 9
		.amdhsa_next_free_sgpr 16
		.amdhsa_reserve_vcc 0
		.amdhsa_float_round_mode_32 0
		.amdhsa_float_round_mode_16_64 0
		.amdhsa_float_denorm_mode_32 3
		.amdhsa_float_denorm_mode_16_64 3
		.amdhsa_dx10_clamp 1
		.amdhsa_ieee_mode 1
		.amdhsa_fp16_overflow 0
		.amdhsa_workgroup_processor_mode 1
		.amdhsa_memory_ordered 1
		.amdhsa_forward_progress 0
		.amdhsa_shared_vgpr_count 0
		.amdhsa_exception_fp_ieee_invalid_op 0
		.amdhsa_exception_fp_denorm_src 0
		.amdhsa_exception_fp_ieee_div_zero 0
		.amdhsa_exception_fp_ieee_overflow 0
		.amdhsa_exception_fp_ieee_underflow 0
		.amdhsa_exception_fp_ieee_inexact 0
		.amdhsa_exception_int_div_zero 0
	.end_amdhsa_kernel
	.section	.text._Z25scatter_to_blocked_kernelIiiLj128ELj2EEvPT_PT0_Pj,"axG",@progbits,_Z25scatter_to_blocked_kernelIiiLj128ELj2EEvPT_PT0_Pj,comdat
.Lfunc_end86:
	.size	_Z25scatter_to_blocked_kernelIiiLj128ELj2EEvPT_PT0_Pj, .Lfunc_end86-_Z25scatter_to_blocked_kernelIiiLj128ELj2EEvPT_PT0_Pj
                                        ; -- End function
	.section	.AMDGPU.csdata,"",@progbits
; Kernel info:
; codeLenInByte = 204
; NumSgprs: 16
; NumVgprs: 9
; ScratchSize: 0
; MemoryBound: 0
; FloatMode: 240
; IeeeMode: 1
; LDSByteSize: 528 bytes/workgroup (compile time only)
; SGPRBlocks: 1
; VGPRBlocks: 1
; NumSGPRsForWavesPerEU: 16
; NumVGPRsForWavesPerEU: 9
; Occupancy: 16
; WaveLimiterHint : 0
; COMPUTE_PGM_RSRC2:SCRATCH_EN: 0
; COMPUTE_PGM_RSRC2:USER_SGPR: 15
; COMPUTE_PGM_RSRC2:TRAP_HANDLER: 0
; COMPUTE_PGM_RSRC2:TGID_X_EN: 1
; COMPUTE_PGM_RSRC2:TGID_Y_EN: 0
; COMPUTE_PGM_RSRC2:TGID_Z_EN: 0
; COMPUTE_PGM_RSRC2:TIDIG_COMP_CNT: 0
	.section	.text._Z25scatter_to_blocked_kernelIxxLj512ELj1EEvPT_PT0_Pj,"axG",@progbits,_Z25scatter_to_blocked_kernelIxxLj512ELj1EEvPT_PT0_Pj,comdat
	.protected	_Z25scatter_to_blocked_kernelIxxLj512ELj1EEvPT_PT0_Pj ; -- Begin function _Z25scatter_to_blocked_kernelIxxLj512ELj1EEvPT_PT0_Pj
	.globl	_Z25scatter_to_blocked_kernelIxxLj512ELj1EEvPT_PT0_Pj
	.p2align	8
	.type	_Z25scatter_to_blocked_kernelIxxLj512ELj1EEvPT_PT0_Pj,@function
_Z25scatter_to_blocked_kernelIxxLj512ELj1EEvPT_PT0_Pj: ; @_Z25scatter_to_blocked_kernelIxxLj512ELj1EEvPT_PT0_Pj
; %bb.0:
	s_clause 0x1
	s_load_b128 s[4:7], s[0:1], 0x0
	s_load_b64 s[0:1], s[0:1], 0x10
	s_mov_b32 s3, 0
	s_lshl_b32 s2, s15, 9
	v_lshlrev_b32_e32 v1, 2, v0
	s_lshl_b64 s[8:9], s[2:3], 3
	v_lshlrev_b32_e32 v2, 3, v0
	s_waitcnt lgkmcnt(0)
	s_add_u32 s4, s4, s8
	s_addc_u32 s5, s5, s9
	s_lshl_b64 s[2:3], s[2:3], 2
	s_delay_alu instid0(SALU_CYCLE_1)
	s_add_u32 s0, s0, s2
	s_addc_u32 s1, s1, s3
	global_load_b32 v3, v1, s[0:1]
	global_load_b64 v[0:1], v2, s[4:5]
	s_add_u32 s0, s6, s8
	s_addc_u32 s1, s7, s9
	s_waitcnt vmcnt(1)
	v_lshlrev_b32_e32 v3, 3, v3
	s_waitcnt vmcnt(0)
	ds_store_b64 v3, v[0:1]
	s_waitcnt lgkmcnt(0)
	s_barrier
	buffer_gl0_inv
	ds_load_b64 v[0:1], v2
	s_waitcnt lgkmcnt(0)
	global_store_b64 v2, v[0:1], s[0:1]
	s_nop 0
	s_sendmsg sendmsg(MSG_DEALLOC_VGPRS)
	s_endpgm
	.section	.rodata,"a",@progbits
	.p2align	6, 0x0
	.amdhsa_kernel _Z25scatter_to_blocked_kernelIxxLj512ELj1EEvPT_PT0_Pj
		.amdhsa_group_segment_fixed_size 4096
		.amdhsa_private_segment_fixed_size 0
		.amdhsa_kernarg_size 24
		.amdhsa_user_sgpr_count 15
		.amdhsa_user_sgpr_dispatch_ptr 0
		.amdhsa_user_sgpr_queue_ptr 0
		.amdhsa_user_sgpr_kernarg_segment_ptr 1
		.amdhsa_user_sgpr_dispatch_id 0
		.amdhsa_user_sgpr_private_segment_size 0
		.amdhsa_wavefront_size32 1
		.amdhsa_uses_dynamic_stack 0
		.amdhsa_enable_private_segment 0
		.amdhsa_system_sgpr_workgroup_id_x 1
		.amdhsa_system_sgpr_workgroup_id_y 0
		.amdhsa_system_sgpr_workgroup_id_z 0
		.amdhsa_system_sgpr_workgroup_info 0
		.amdhsa_system_vgpr_workitem_id 0
		.amdhsa_next_free_vgpr 4
		.amdhsa_next_free_sgpr 16
		.amdhsa_reserve_vcc 0
		.amdhsa_float_round_mode_32 0
		.amdhsa_float_round_mode_16_64 0
		.amdhsa_float_denorm_mode_32 3
		.amdhsa_float_denorm_mode_16_64 3
		.amdhsa_dx10_clamp 1
		.amdhsa_ieee_mode 1
		.amdhsa_fp16_overflow 0
		.amdhsa_workgroup_processor_mode 1
		.amdhsa_memory_ordered 1
		.amdhsa_forward_progress 0
		.amdhsa_shared_vgpr_count 0
		.amdhsa_exception_fp_ieee_invalid_op 0
		.amdhsa_exception_fp_denorm_src 0
		.amdhsa_exception_fp_ieee_div_zero 0
		.amdhsa_exception_fp_ieee_overflow 0
		.amdhsa_exception_fp_ieee_underflow 0
		.amdhsa_exception_fp_ieee_inexact 0
		.amdhsa_exception_int_div_zero 0
	.end_amdhsa_kernel
	.section	.text._Z25scatter_to_blocked_kernelIxxLj512ELj1EEvPT_PT0_Pj,"axG",@progbits,_Z25scatter_to_blocked_kernelIxxLj512ELj1EEvPT_PT0_Pj,comdat
.Lfunc_end87:
	.size	_Z25scatter_to_blocked_kernelIxxLj512ELj1EEvPT_PT0_Pj, .Lfunc_end87-_Z25scatter_to_blocked_kernelIxxLj512ELj1EEvPT_PT0_Pj
                                        ; -- End function
	.section	.AMDGPU.csdata,"",@progbits
; Kernel info:
; codeLenInByte = 160
; NumSgprs: 16
; NumVgprs: 4
; ScratchSize: 0
; MemoryBound: 0
; FloatMode: 240
; IeeeMode: 1
; LDSByteSize: 4096 bytes/workgroup (compile time only)
; SGPRBlocks: 1
; VGPRBlocks: 0
; NumSGPRsForWavesPerEU: 16
; NumVGPRsForWavesPerEU: 4
; Occupancy: 16
; WaveLimiterHint : 0
; COMPUTE_PGM_RSRC2:SCRATCH_EN: 0
; COMPUTE_PGM_RSRC2:USER_SGPR: 15
; COMPUTE_PGM_RSRC2:TRAP_HANDLER: 0
; COMPUTE_PGM_RSRC2:TGID_X_EN: 1
; COMPUTE_PGM_RSRC2:TGID_Y_EN: 0
; COMPUTE_PGM_RSRC2:TGID_Z_EN: 0
; COMPUTE_PGM_RSRC2:TIDIG_COMP_CNT: 0
	.section	.text._Z25scatter_to_blocked_kernelIs5dummyIiELj256ELj1EEvPT_PT0_Pj,"axG",@progbits,_Z25scatter_to_blocked_kernelIs5dummyIiELj256ELj1EEvPT_PT0_Pj,comdat
	.protected	_Z25scatter_to_blocked_kernelIs5dummyIiELj256ELj1EEvPT_PT0_Pj ; -- Begin function _Z25scatter_to_blocked_kernelIs5dummyIiELj256ELj1EEvPT_PT0_Pj
	.globl	_Z25scatter_to_blocked_kernelIs5dummyIiELj256ELj1EEvPT_PT0_Pj
	.p2align	8
	.type	_Z25scatter_to_blocked_kernelIs5dummyIiELj256ELj1EEvPT_PT0_Pj,@function
_Z25scatter_to_blocked_kernelIs5dummyIiELj256ELj1EEvPT_PT0_Pj: ; @_Z25scatter_to_blocked_kernelIs5dummyIiELj256ELj1EEvPT_PT0_Pj
; %bb.0:
	s_clause 0x1
	s_load_b128 s[4:7], s[0:1], 0x0
	s_load_b64 s[0:1], s[0:1], 0x10
	s_mov_b32 s3, 0
	s_lshl_b32 s2, s15, 8
	v_lshlrev_b32_e32 v1, 2, v0
	s_lshl_b64 s[8:9], s[2:3], 1
	v_lshlrev_b32_e32 v2, 1, v0
	v_lshlrev_b32_e32 v0, 3, v0
	s_waitcnt lgkmcnt(0)
	s_add_u32 s4, s4, s8
	s_addc_u32 s5, s5, s9
	s_lshl_b64 s[8:9], s[2:3], 2
	s_delay_alu instid0(SALU_CYCLE_1) | instskip(SKIP_4) | instid1(SALU_CYCLE_1)
	s_add_u32 s0, s0, s8
	s_addc_u32 s1, s1, s9
	global_load_b32 v1, v1, s[0:1]
	global_load_u16 v3, v2, s[4:5]
	s_lshl_b64 s[0:1], s[2:3], 3
	s_add_u32 s0, s6, s0
	s_addc_u32 s1, s7, s1
	s_waitcnt vmcnt(1)
	v_lshlrev_b32_e32 v1, 1, v1
	s_waitcnt vmcnt(0)
	ds_store_b16 v1, v3
	s_waitcnt lgkmcnt(0)
	s_barrier
	buffer_gl0_inv
	ds_load_i16 v1, v2
	s_waitcnt lgkmcnt(0)
	v_lshlrev_b32_e32 v2, 1, v1
	v_add_nc_u32_e32 v1, 1, v1
	global_store_b64 v0, v[1:2], s[0:1]
	s_nop 0
	s_sendmsg sendmsg(MSG_DEALLOC_VGPRS)
	s_endpgm
	.section	.rodata,"a",@progbits
	.p2align	6, 0x0
	.amdhsa_kernel _Z25scatter_to_blocked_kernelIs5dummyIiELj256ELj1EEvPT_PT0_Pj
		.amdhsa_group_segment_fixed_size 512
		.amdhsa_private_segment_fixed_size 0
		.amdhsa_kernarg_size 24
		.amdhsa_user_sgpr_count 15
		.amdhsa_user_sgpr_dispatch_ptr 0
		.amdhsa_user_sgpr_queue_ptr 0
		.amdhsa_user_sgpr_kernarg_segment_ptr 1
		.amdhsa_user_sgpr_dispatch_id 0
		.amdhsa_user_sgpr_private_segment_size 0
		.amdhsa_wavefront_size32 1
		.amdhsa_uses_dynamic_stack 0
		.amdhsa_enable_private_segment 0
		.amdhsa_system_sgpr_workgroup_id_x 1
		.amdhsa_system_sgpr_workgroup_id_y 0
		.amdhsa_system_sgpr_workgroup_id_z 0
		.amdhsa_system_sgpr_workgroup_info 0
		.amdhsa_system_vgpr_workitem_id 0
		.amdhsa_next_free_vgpr 4
		.amdhsa_next_free_sgpr 16
		.amdhsa_reserve_vcc 0
		.amdhsa_float_round_mode_32 0
		.amdhsa_float_round_mode_16_64 0
		.amdhsa_float_denorm_mode_32 3
		.amdhsa_float_denorm_mode_16_64 3
		.amdhsa_dx10_clamp 1
		.amdhsa_ieee_mode 1
		.amdhsa_fp16_overflow 0
		.amdhsa_workgroup_processor_mode 1
		.amdhsa_memory_ordered 1
		.amdhsa_forward_progress 0
		.amdhsa_shared_vgpr_count 0
		.amdhsa_exception_fp_ieee_invalid_op 0
		.amdhsa_exception_fp_denorm_src 0
		.amdhsa_exception_fp_ieee_div_zero 0
		.amdhsa_exception_fp_ieee_overflow 0
		.amdhsa_exception_fp_ieee_underflow 0
		.amdhsa_exception_fp_ieee_inexact 0
		.amdhsa_exception_int_div_zero 0
	.end_amdhsa_kernel
	.section	.text._Z25scatter_to_blocked_kernelIs5dummyIiELj256ELj1EEvPT_PT0_Pj,"axG",@progbits,_Z25scatter_to_blocked_kernelIs5dummyIiELj256ELj1EEvPT_PT0_Pj,comdat
.Lfunc_end88:
	.size	_Z25scatter_to_blocked_kernelIs5dummyIiELj256ELj1EEvPT_PT0_Pj, .Lfunc_end88-_Z25scatter_to_blocked_kernelIs5dummyIiELj256ELj1EEvPT_PT0_Pj
                                        ; -- End function
	.section	.AMDGPU.csdata,"",@progbits
; Kernel info:
; codeLenInByte = 176
; NumSgprs: 16
; NumVgprs: 4
; ScratchSize: 0
; MemoryBound: 0
; FloatMode: 240
; IeeeMode: 1
; LDSByteSize: 512 bytes/workgroup (compile time only)
; SGPRBlocks: 1
; VGPRBlocks: 0
; NumSGPRsForWavesPerEU: 16
; NumVGPRsForWavesPerEU: 4
; Occupancy: 16
; WaveLimiterHint : 0
; COMPUTE_PGM_RSRC2:SCRATCH_EN: 0
; COMPUTE_PGM_RSRC2:USER_SGPR: 15
; COMPUTE_PGM_RSRC2:TRAP_HANDLER: 0
; COMPUTE_PGM_RSRC2:TGID_X_EN: 1
; COMPUTE_PGM_RSRC2:TGID_Y_EN: 0
; COMPUTE_PGM_RSRC2:TGID_Z_EN: 0
; COMPUTE_PGM_RSRC2:TIDIG_COMP_CNT: 0
	.section	.text._Z25scatter_to_blocked_kernelIyyLj128ELj1EEvPT_PT0_Pj,"axG",@progbits,_Z25scatter_to_blocked_kernelIyyLj128ELj1EEvPT_PT0_Pj,comdat
	.protected	_Z25scatter_to_blocked_kernelIyyLj128ELj1EEvPT_PT0_Pj ; -- Begin function _Z25scatter_to_blocked_kernelIyyLj128ELj1EEvPT_PT0_Pj
	.globl	_Z25scatter_to_blocked_kernelIyyLj128ELj1EEvPT_PT0_Pj
	.p2align	8
	.type	_Z25scatter_to_blocked_kernelIyyLj128ELj1EEvPT_PT0_Pj,@function
_Z25scatter_to_blocked_kernelIyyLj128ELj1EEvPT_PT0_Pj: ; @_Z25scatter_to_blocked_kernelIyyLj128ELj1EEvPT_PT0_Pj
; %bb.0:
	s_clause 0x1
	s_load_b128 s[4:7], s[0:1], 0x0
	s_load_b64 s[0:1], s[0:1], 0x10
	s_mov_b32 s3, 0
	s_lshl_b32 s2, s15, 7
	v_lshlrev_b32_e32 v1, 2, v0
	s_lshl_b64 s[8:9], s[2:3], 3
	v_lshlrev_b32_e32 v2, 3, v0
	s_waitcnt lgkmcnt(0)
	s_add_u32 s4, s4, s8
	s_addc_u32 s5, s5, s9
	s_lshl_b64 s[2:3], s[2:3], 2
	s_delay_alu instid0(SALU_CYCLE_1)
	s_add_u32 s0, s0, s2
	s_addc_u32 s1, s1, s3
	global_load_b32 v3, v1, s[0:1]
	global_load_b64 v[0:1], v2, s[4:5]
	s_add_u32 s0, s6, s8
	s_addc_u32 s1, s7, s9
	s_waitcnt vmcnt(1)
	v_lshlrev_b32_e32 v3, 3, v3
	s_waitcnt vmcnt(0)
	ds_store_b64 v3, v[0:1]
	s_waitcnt lgkmcnt(0)
	s_barrier
	buffer_gl0_inv
	ds_load_b64 v[0:1], v2
	s_waitcnt lgkmcnt(0)
	global_store_b64 v2, v[0:1], s[0:1]
	s_nop 0
	s_sendmsg sendmsg(MSG_DEALLOC_VGPRS)
	s_endpgm
	.section	.rodata,"a",@progbits
	.p2align	6, 0x0
	.amdhsa_kernel _Z25scatter_to_blocked_kernelIyyLj128ELj1EEvPT_PT0_Pj
		.amdhsa_group_segment_fixed_size 1024
		.amdhsa_private_segment_fixed_size 0
		.amdhsa_kernarg_size 24
		.amdhsa_user_sgpr_count 15
		.amdhsa_user_sgpr_dispatch_ptr 0
		.amdhsa_user_sgpr_queue_ptr 0
		.amdhsa_user_sgpr_kernarg_segment_ptr 1
		.amdhsa_user_sgpr_dispatch_id 0
		.amdhsa_user_sgpr_private_segment_size 0
		.amdhsa_wavefront_size32 1
		.amdhsa_uses_dynamic_stack 0
		.amdhsa_enable_private_segment 0
		.amdhsa_system_sgpr_workgroup_id_x 1
		.amdhsa_system_sgpr_workgroup_id_y 0
		.amdhsa_system_sgpr_workgroup_id_z 0
		.amdhsa_system_sgpr_workgroup_info 0
		.amdhsa_system_vgpr_workitem_id 0
		.amdhsa_next_free_vgpr 4
		.amdhsa_next_free_sgpr 16
		.amdhsa_reserve_vcc 0
		.amdhsa_float_round_mode_32 0
		.amdhsa_float_round_mode_16_64 0
		.amdhsa_float_denorm_mode_32 3
		.amdhsa_float_denorm_mode_16_64 3
		.amdhsa_dx10_clamp 1
		.amdhsa_ieee_mode 1
		.amdhsa_fp16_overflow 0
		.amdhsa_workgroup_processor_mode 1
		.amdhsa_memory_ordered 1
		.amdhsa_forward_progress 0
		.amdhsa_shared_vgpr_count 0
		.amdhsa_exception_fp_ieee_invalid_op 0
		.amdhsa_exception_fp_denorm_src 0
		.amdhsa_exception_fp_ieee_div_zero 0
		.amdhsa_exception_fp_ieee_overflow 0
		.amdhsa_exception_fp_ieee_underflow 0
		.amdhsa_exception_fp_ieee_inexact 0
		.amdhsa_exception_int_div_zero 0
	.end_amdhsa_kernel
	.section	.text._Z25scatter_to_blocked_kernelIyyLj128ELj1EEvPT_PT0_Pj,"axG",@progbits,_Z25scatter_to_blocked_kernelIyyLj128ELj1EEvPT_PT0_Pj,comdat
.Lfunc_end89:
	.size	_Z25scatter_to_blocked_kernelIyyLj128ELj1EEvPT_PT0_Pj, .Lfunc_end89-_Z25scatter_to_blocked_kernelIyyLj128ELj1EEvPT_PT0_Pj
                                        ; -- End function
	.section	.AMDGPU.csdata,"",@progbits
; Kernel info:
; codeLenInByte = 160
; NumSgprs: 16
; NumVgprs: 4
; ScratchSize: 0
; MemoryBound: 0
; FloatMode: 240
; IeeeMode: 1
; LDSByteSize: 1024 bytes/workgroup (compile time only)
; SGPRBlocks: 1
; VGPRBlocks: 0
; NumSGPRsForWavesPerEU: 16
; NumVGPRsForWavesPerEU: 4
; Occupancy: 16
; WaveLimiterHint : 0
; COMPUTE_PGM_RSRC2:SCRATCH_EN: 0
; COMPUTE_PGM_RSRC2:USER_SGPR: 15
; COMPUTE_PGM_RSRC2:TRAP_HANDLER: 0
; COMPUTE_PGM_RSRC2:TGID_X_EN: 1
; COMPUTE_PGM_RSRC2:TGID_Y_EN: 0
; COMPUTE_PGM_RSRC2:TGID_Z_EN: 0
; COMPUTE_PGM_RSRC2:TIDIG_COMP_CNT: 0
	.section	.text._Z25scatter_to_blocked_kernelIixLj64ELj1EEvPT_PT0_Pj,"axG",@progbits,_Z25scatter_to_blocked_kernelIixLj64ELj1EEvPT_PT0_Pj,comdat
	.protected	_Z25scatter_to_blocked_kernelIixLj64ELj1EEvPT_PT0_Pj ; -- Begin function _Z25scatter_to_blocked_kernelIixLj64ELj1EEvPT_PT0_Pj
	.globl	_Z25scatter_to_blocked_kernelIixLj64ELj1EEvPT_PT0_Pj
	.p2align	8
	.type	_Z25scatter_to_blocked_kernelIixLj64ELj1EEvPT_PT0_Pj,@function
_Z25scatter_to_blocked_kernelIixLj64ELj1EEvPT_PT0_Pj: ; @_Z25scatter_to_blocked_kernelIixLj64ELj1EEvPT_PT0_Pj
; %bb.0:
	s_clause 0x1
	s_load_b128 s[4:7], s[0:1], 0x0
	s_load_b64 s[0:1], s[0:1], 0x10
	s_mov_b32 s3, 0
	s_lshl_b32 s2, s15, 6
	v_lshlrev_b32_e32 v1, 2, v0
	s_lshl_b64 s[8:9], s[2:3], 2
	v_lshlrev_b32_e32 v0, 3, v0
	s_waitcnt lgkmcnt(0)
	s_add_u32 s4, s4, s8
	s_addc_u32 s5, s5, s9
	s_add_u32 s0, s0, s8
	s_addc_u32 s1, s1, s9
	s_clause 0x1
	global_load_b32 v2, v1, s[0:1]
	global_load_b32 v3, v1, s[4:5]
	s_lshl_b64 s[0:1], s[2:3], 3
	s_delay_alu instid0(SALU_CYCLE_1)
	s_add_u32 s0, s6, s0
	s_addc_u32 s1, s7, s1
	s_waitcnt vmcnt(1)
	v_lshlrev_b32_e32 v2, 2, v2
	s_waitcnt vmcnt(0)
	ds_store_b32 v2, v3
	s_waitcnt lgkmcnt(0)
	s_barrier
	buffer_gl0_inv
	ds_load_b32 v1, v1
	s_waitcnt lgkmcnt(0)
	v_ashrrev_i32_e32 v2, 31, v1
	global_store_b64 v0, v[1:2], s[0:1]
	s_nop 0
	s_sendmsg sendmsg(MSG_DEALLOC_VGPRS)
	s_endpgm
	.section	.rodata,"a",@progbits
	.p2align	6, 0x0
	.amdhsa_kernel _Z25scatter_to_blocked_kernelIixLj64ELj1EEvPT_PT0_Pj
		.amdhsa_group_segment_fixed_size 256
		.amdhsa_private_segment_fixed_size 0
		.amdhsa_kernarg_size 24
		.amdhsa_user_sgpr_count 15
		.amdhsa_user_sgpr_dispatch_ptr 0
		.amdhsa_user_sgpr_queue_ptr 0
		.amdhsa_user_sgpr_kernarg_segment_ptr 1
		.amdhsa_user_sgpr_dispatch_id 0
		.amdhsa_user_sgpr_private_segment_size 0
		.amdhsa_wavefront_size32 1
		.amdhsa_uses_dynamic_stack 0
		.amdhsa_enable_private_segment 0
		.amdhsa_system_sgpr_workgroup_id_x 1
		.amdhsa_system_sgpr_workgroup_id_y 0
		.amdhsa_system_sgpr_workgroup_id_z 0
		.amdhsa_system_sgpr_workgroup_info 0
		.amdhsa_system_vgpr_workitem_id 0
		.amdhsa_next_free_vgpr 4
		.amdhsa_next_free_sgpr 16
		.amdhsa_reserve_vcc 0
		.amdhsa_float_round_mode_32 0
		.amdhsa_float_round_mode_16_64 0
		.amdhsa_float_denorm_mode_32 3
		.amdhsa_float_denorm_mode_16_64 3
		.amdhsa_dx10_clamp 1
		.amdhsa_ieee_mode 1
		.amdhsa_fp16_overflow 0
		.amdhsa_workgroup_processor_mode 1
		.amdhsa_memory_ordered 1
		.amdhsa_forward_progress 0
		.amdhsa_shared_vgpr_count 0
		.amdhsa_exception_fp_ieee_invalid_op 0
		.amdhsa_exception_fp_denorm_src 0
		.amdhsa_exception_fp_ieee_div_zero 0
		.amdhsa_exception_fp_ieee_overflow 0
		.amdhsa_exception_fp_ieee_underflow 0
		.amdhsa_exception_fp_ieee_inexact 0
		.amdhsa_exception_int_div_zero 0
	.end_amdhsa_kernel
	.section	.text._Z25scatter_to_blocked_kernelIixLj64ELj1EEvPT_PT0_Pj,"axG",@progbits,_Z25scatter_to_blocked_kernelIixLj64ELj1EEvPT_PT0_Pj,comdat
.Lfunc_end90:
	.size	_Z25scatter_to_blocked_kernelIixLj64ELj1EEvPT_PT0_Pj, .Lfunc_end90-_Z25scatter_to_blocked_kernelIixLj64ELj1EEvPT_PT0_Pj
                                        ; -- End function
	.section	.AMDGPU.csdata,"",@progbits
; Kernel info:
; codeLenInByte = 168
; NumSgprs: 16
; NumVgprs: 4
; ScratchSize: 0
; MemoryBound: 0
; FloatMode: 240
; IeeeMode: 1
; LDSByteSize: 256 bytes/workgroup (compile time only)
; SGPRBlocks: 1
; VGPRBlocks: 0
; NumSGPRsForWavesPerEU: 16
; NumVGPRsForWavesPerEU: 4
; Occupancy: 16
; WaveLimiterHint : 0
; COMPUTE_PGM_RSRC2:SCRATCH_EN: 0
; COMPUTE_PGM_RSRC2:USER_SGPR: 15
; COMPUTE_PGM_RSRC2:TRAP_HANDLER: 0
; COMPUTE_PGM_RSRC2:TGID_X_EN: 1
; COMPUTE_PGM_RSRC2:TGID_Y_EN: 0
; COMPUTE_PGM_RSRC2:TGID_Z_EN: 0
; COMPUTE_PGM_RSRC2:TIDIG_COMP_CNT: 0
	.section	.text._Z25scatter_to_blocked_kernelI6__halfS0_Lj512ELj4EEvPT_PT0_Pj,"axG",@progbits,_Z25scatter_to_blocked_kernelI6__halfS0_Lj512ELj4EEvPT_PT0_Pj,comdat
	.protected	_Z25scatter_to_blocked_kernelI6__halfS0_Lj512ELj4EEvPT_PT0_Pj ; -- Begin function _Z25scatter_to_blocked_kernelI6__halfS0_Lj512ELj4EEvPT_PT0_Pj
	.globl	_Z25scatter_to_blocked_kernelI6__halfS0_Lj512ELj4EEvPT_PT0_Pj
	.p2align	8
	.type	_Z25scatter_to_blocked_kernelI6__halfS0_Lj512ELj4EEvPT_PT0_Pj,@function
_Z25scatter_to_blocked_kernelI6__halfS0_Lj512ELj4EEvPT_PT0_Pj: ; @_Z25scatter_to_blocked_kernelI6__halfS0_Lj512ELj4EEvPT_PT0_Pj
; %bb.0:
	s_clause 0x1
	s_load_b128 s[4:7], s[0:1], 0x0
	s_load_b64 s[0:1], s[0:1], 0x10
	s_mov_b32 s3, 0
	s_lshl_b32 s2, s15, 9
	v_lshlrev_b32_e32 v1, 4, v0
	s_lshl_b64 s[8:9], s[2:3], 1
	v_lshlrev_b32_e32 v7, 3, v0
	v_lshlrev_b32_e32 v8, 2, v0
	v_lshrrev_b32_e32 v0, 3, v0
	s_delay_alu instid0(VALU_DEP_1) | instskip(NEXT) | instid1(VALU_DEP_1)
	v_and_b32_e32 v0, 62, v0
	v_add_lshl_u32 v0, v0, v8, 1
	s_waitcnt lgkmcnt(0)
	s_add_u32 s4, s4, s8
	s_addc_u32 s5, s5, s9
	s_lshl_b64 s[2:3], s[2:3], 2
	global_load_b64 v[5:6], v7, s[4:5]
	s_add_u32 s0, s0, s2
	s_addc_u32 s1, s1, s3
	global_load_b128 v[1:4], v1, s[0:1]
	s_add_u32 s0, s6, s8
	s_addc_u32 s1, s7, s9
	s_waitcnt vmcnt(0)
	v_lshrrev_b32_e32 v9, 5, v1
	v_lshrrev_b32_e32 v10, 5, v2
	;; [unrolled: 1-line block ×4, first 2 shown]
	s_delay_alu instid0(VALU_DEP_4) | instskip(NEXT) | instid1(VALU_DEP_4)
	v_and_b32_e32 v9, 0x7fffffe, v9
	v_and_b32_e32 v10, 0x7fffffe, v10
	s_delay_alu instid0(VALU_DEP_4) | instskip(NEXT) | instid1(VALU_DEP_4)
	v_and_b32_e32 v11, 0x7fffffe, v11
	v_and_b32_e32 v12, 0x7fffffe, v12
	s_delay_alu instid0(VALU_DEP_4) | instskip(NEXT) | instid1(VALU_DEP_4)
	v_add_lshl_u32 v1, v9, v1, 1
	v_add_lshl_u32 v2, v10, v2, 1
	s_delay_alu instid0(VALU_DEP_4) | instskip(NEXT) | instid1(VALU_DEP_4)
	v_add_lshl_u32 v3, v11, v3, 1
	v_add_lshl_u32 v4, v12, v4, 1
	ds_store_b16 v1, v5
	ds_store_b16_d16_hi v2, v5
	ds_store_b16 v3, v6
	ds_store_b16_d16_hi v4, v6
	s_waitcnt lgkmcnt(0)
	s_barrier
	buffer_gl0_inv
	ds_load_b64 v[0:1], v0
	s_waitcnt lgkmcnt(0)
	global_store_b64 v7, v[0:1], s[0:1]
	s_nop 0
	s_sendmsg sendmsg(MSG_DEALLOC_VGPRS)
	s_endpgm
	.section	.rodata,"a",@progbits
	.p2align	6, 0x0
	.amdhsa_kernel _Z25scatter_to_blocked_kernelI6__halfS0_Lj512ELj4EEvPT_PT0_Pj
		.amdhsa_group_segment_fixed_size 1056
		.amdhsa_private_segment_fixed_size 0
		.amdhsa_kernarg_size 24
		.amdhsa_user_sgpr_count 15
		.amdhsa_user_sgpr_dispatch_ptr 0
		.amdhsa_user_sgpr_queue_ptr 0
		.amdhsa_user_sgpr_kernarg_segment_ptr 1
		.amdhsa_user_sgpr_dispatch_id 0
		.amdhsa_user_sgpr_private_segment_size 0
		.amdhsa_wavefront_size32 1
		.amdhsa_uses_dynamic_stack 0
		.amdhsa_enable_private_segment 0
		.amdhsa_system_sgpr_workgroup_id_x 1
		.amdhsa_system_sgpr_workgroup_id_y 0
		.amdhsa_system_sgpr_workgroup_id_z 0
		.amdhsa_system_sgpr_workgroup_info 0
		.amdhsa_system_vgpr_workitem_id 0
		.amdhsa_next_free_vgpr 13
		.amdhsa_next_free_sgpr 16
		.amdhsa_reserve_vcc 0
		.amdhsa_float_round_mode_32 0
		.amdhsa_float_round_mode_16_64 0
		.amdhsa_float_denorm_mode_32 3
		.amdhsa_float_denorm_mode_16_64 3
		.amdhsa_dx10_clamp 1
		.amdhsa_ieee_mode 1
		.amdhsa_fp16_overflow 0
		.amdhsa_workgroup_processor_mode 1
		.amdhsa_memory_ordered 1
		.amdhsa_forward_progress 0
		.amdhsa_shared_vgpr_count 0
		.amdhsa_exception_fp_ieee_invalid_op 0
		.amdhsa_exception_fp_denorm_src 0
		.amdhsa_exception_fp_ieee_div_zero 0
		.amdhsa_exception_fp_ieee_overflow 0
		.amdhsa_exception_fp_ieee_underflow 0
		.amdhsa_exception_fp_ieee_inexact 0
		.amdhsa_exception_int_div_zero 0
	.end_amdhsa_kernel
	.section	.text._Z25scatter_to_blocked_kernelI6__halfS0_Lj512ELj4EEvPT_PT0_Pj,"axG",@progbits,_Z25scatter_to_blocked_kernelI6__halfS0_Lj512ELj4EEvPT_PT0_Pj,comdat
.Lfunc_end91:
	.size	_Z25scatter_to_blocked_kernelI6__halfS0_Lj512ELj4EEvPT_PT0_Pj, .Lfunc_end91-_Z25scatter_to_blocked_kernelI6__halfS0_Lj512ELj4EEvPT_PT0_Pj
                                        ; -- End function
	.section	.AMDGPU.csdata,"",@progbits
; Kernel info:
; codeLenInByte = 292
; NumSgprs: 16
; NumVgprs: 13
; ScratchSize: 0
; MemoryBound: 0
; FloatMode: 240
; IeeeMode: 1
; LDSByteSize: 1056 bytes/workgroup (compile time only)
; SGPRBlocks: 1
; VGPRBlocks: 1
; NumSGPRsForWavesPerEU: 16
; NumVGPRsForWavesPerEU: 13
; Occupancy: 16
; WaveLimiterHint : 0
; COMPUTE_PGM_RSRC2:SCRATCH_EN: 0
; COMPUTE_PGM_RSRC2:USER_SGPR: 15
; COMPUTE_PGM_RSRC2:TRAP_HANDLER: 0
; COMPUTE_PGM_RSRC2:TGID_X_EN: 1
; COMPUTE_PGM_RSRC2:TGID_Y_EN: 0
; COMPUTE_PGM_RSRC2:TGID_Z_EN: 0
; COMPUTE_PGM_RSRC2:TIDIG_COMP_CNT: 0
	.section	.text._Z25scatter_to_blocked_kernelI12hip_bfloat16S0_Lj512ELj4EEvPT_PT0_Pj,"axG",@progbits,_Z25scatter_to_blocked_kernelI12hip_bfloat16S0_Lj512ELj4EEvPT_PT0_Pj,comdat
	.protected	_Z25scatter_to_blocked_kernelI12hip_bfloat16S0_Lj512ELj4EEvPT_PT0_Pj ; -- Begin function _Z25scatter_to_blocked_kernelI12hip_bfloat16S0_Lj512ELj4EEvPT_PT0_Pj
	.globl	_Z25scatter_to_blocked_kernelI12hip_bfloat16S0_Lj512ELj4EEvPT_PT0_Pj
	.p2align	8
	.type	_Z25scatter_to_blocked_kernelI12hip_bfloat16S0_Lj512ELj4EEvPT_PT0_Pj,@function
_Z25scatter_to_blocked_kernelI12hip_bfloat16S0_Lj512ELj4EEvPT_PT0_Pj: ; @_Z25scatter_to_blocked_kernelI12hip_bfloat16S0_Lj512ELj4EEvPT_PT0_Pj
; %bb.0:
	s_clause 0x1
	s_load_b128 s[4:7], s[0:1], 0x0
	s_load_b64 s[0:1], s[0:1], 0x10
	s_mov_b32 s3, 0
	s_lshl_b32 s2, s15, 9
	v_lshlrev_b32_e32 v1, 4, v0
	s_lshl_b64 s[8:9], s[2:3], 1
	v_lshlrev_b32_e32 v7, 3, v0
	v_lshlrev_b32_e32 v8, 2, v0
	v_lshrrev_b32_e32 v0, 3, v0
	s_delay_alu instid0(VALU_DEP_1) | instskip(NEXT) | instid1(VALU_DEP_1)
	v_and_b32_e32 v0, 62, v0
	v_add_lshl_u32 v0, v0, v8, 1
	s_waitcnt lgkmcnt(0)
	s_add_u32 s4, s4, s8
	s_addc_u32 s5, s5, s9
	s_lshl_b64 s[2:3], s[2:3], 2
	global_load_b64 v[5:6], v7, s[4:5]
	s_add_u32 s0, s0, s2
	s_addc_u32 s1, s1, s3
	global_load_b128 v[1:4], v1, s[0:1]
	s_add_u32 s0, s6, s8
	s_addc_u32 s1, s7, s9
	s_waitcnt vmcnt(0)
	v_lshrrev_b32_e32 v9, 5, v1
	v_lshrrev_b32_e32 v10, 5, v2
	;; [unrolled: 1-line block ×4, first 2 shown]
	s_delay_alu instid0(VALU_DEP_4) | instskip(NEXT) | instid1(VALU_DEP_4)
	v_and_b32_e32 v9, 0x7fffffe, v9
	v_and_b32_e32 v10, 0x7fffffe, v10
	s_delay_alu instid0(VALU_DEP_4) | instskip(NEXT) | instid1(VALU_DEP_4)
	v_and_b32_e32 v11, 0x7fffffe, v11
	v_and_b32_e32 v12, 0x7fffffe, v12
	s_delay_alu instid0(VALU_DEP_4) | instskip(NEXT) | instid1(VALU_DEP_4)
	v_add_lshl_u32 v1, v9, v1, 1
	v_add_lshl_u32 v2, v10, v2, 1
	s_delay_alu instid0(VALU_DEP_4) | instskip(NEXT) | instid1(VALU_DEP_4)
	v_add_lshl_u32 v3, v11, v3, 1
	v_add_lshl_u32 v4, v12, v4, 1
	ds_store_b16 v1, v5
	ds_store_b16_d16_hi v2, v5
	ds_store_b16 v3, v6
	ds_store_b16_d16_hi v4, v6
	s_waitcnt lgkmcnt(0)
	s_barrier
	buffer_gl0_inv
	ds_load_b64 v[0:1], v0
	s_waitcnt lgkmcnt(0)
	global_store_b64 v7, v[0:1], s[0:1]
	s_nop 0
	s_sendmsg sendmsg(MSG_DEALLOC_VGPRS)
	s_endpgm
	.section	.rodata,"a",@progbits
	.p2align	6, 0x0
	.amdhsa_kernel _Z25scatter_to_blocked_kernelI12hip_bfloat16S0_Lj512ELj4EEvPT_PT0_Pj
		.amdhsa_group_segment_fixed_size 1056
		.amdhsa_private_segment_fixed_size 0
		.amdhsa_kernarg_size 24
		.amdhsa_user_sgpr_count 15
		.amdhsa_user_sgpr_dispatch_ptr 0
		.amdhsa_user_sgpr_queue_ptr 0
		.amdhsa_user_sgpr_kernarg_segment_ptr 1
		.amdhsa_user_sgpr_dispatch_id 0
		.amdhsa_user_sgpr_private_segment_size 0
		.amdhsa_wavefront_size32 1
		.amdhsa_uses_dynamic_stack 0
		.amdhsa_enable_private_segment 0
		.amdhsa_system_sgpr_workgroup_id_x 1
		.amdhsa_system_sgpr_workgroup_id_y 0
		.amdhsa_system_sgpr_workgroup_id_z 0
		.amdhsa_system_sgpr_workgroup_info 0
		.amdhsa_system_vgpr_workitem_id 0
		.amdhsa_next_free_vgpr 13
		.amdhsa_next_free_sgpr 16
		.amdhsa_reserve_vcc 0
		.amdhsa_float_round_mode_32 0
		.amdhsa_float_round_mode_16_64 0
		.amdhsa_float_denorm_mode_32 3
		.amdhsa_float_denorm_mode_16_64 3
		.amdhsa_dx10_clamp 1
		.amdhsa_ieee_mode 1
		.amdhsa_fp16_overflow 0
		.amdhsa_workgroup_processor_mode 1
		.amdhsa_memory_ordered 1
		.amdhsa_forward_progress 0
		.amdhsa_shared_vgpr_count 0
		.amdhsa_exception_fp_ieee_invalid_op 0
		.amdhsa_exception_fp_denorm_src 0
		.amdhsa_exception_fp_ieee_div_zero 0
		.amdhsa_exception_fp_ieee_overflow 0
		.amdhsa_exception_fp_ieee_underflow 0
		.amdhsa_exception_fp_ieee_inexact 0
		.amdhsa_exception_int_div_zero 0
	.end_amdhsa_kernel
	.section	.text._Z25scatter_to_blocked_kernelI12hip_bfloat16S0_Lj512ELj4EEvPT_PT0_Pj,"axG",@progbits,_Z25scatter_to_blocked_kernelI12hip_bfloat16S0_Lj512ELj4EEvPT_PT0_Pj,comdat
.Lfunc_end92:
	.size	_Z25scatter_to_blocked_kernelI12hip_bfloat16S0_Lj512ELj4EEvPT_PT0_Pj, .Lfunc_end92-_Z25scatter_to_blocked_kernelI12hip_bfloat16S0_Lj512ELj4EEvPT_PT0_Pj
                                        ; -- End function
	.section	.AMDGPU.csdata,"",@progbits
; Kernel info:
; codeLenInByte = 292
; NumSgprs: 16
; NumVgprs: 13
; ScratchSize: 0
; MemoryBound: 0
; FloatMode: 240
; IeeeMode: 1
; LDSByteSize: 1056 bytes/workgroup (compile time only)
; SGPRBlocks: 1
; VGPRBlocks: 1
; NumSGPRsForWavesPerEU: 16
; NumVGPRsForWavesPerEU: 13
; Occupancy: 16
; WaveLimiterHint : 0
; COMPUTE_PGM_RSRC2:SCRATCH_EN: 0
; COMPUTE_PGM_RSRC2:USER_SGPR: 15
; COMPUTE_PGM_RSRC2:TRAP_HANDLER: 0
; COMPUTE_PGM_RSRC2:TGID_X_EN: 1
; COMPUTE_PGM_RSRC2:TGID_Y_EN: 0
; COMPUTE_PGM_RSRC2:TGID_Z_EN: 0
; COMPUTE_PGM_RSRC2:TIDIG_COMP_CNT: 0
	.section	.text._Z25scatter_to_blocked_kernelIfdLj512ELj4EEvPT_PT0_Pj,"axG",@progbits,_Z25scatter_to_blocked_kernelIfdLj512ELj4EEvPT_PT0_Pj,comdat
	.protected	_Z25scatter_to_blocked_kernelIfdLj512ELj4EEvPT_PT0_Pj ; -- Begin function _Z25scatter_to_blocked_kernelIfdLj512ELj4EEvPT_PT0_Pj
	.globl	_Z25scatter_to_blocked_kernelIfdLj512ELj4EEvPT_PT0_Pj
	.p2align	8
	.type	_Z25scatter_to_blocked_kernelIfdLj512ELj4EEvPT_PT0_Pj,@function
_Z25scatter_to_blocked_kernelIfdLj512ELj4EEvPT_PT0_Pj: ; @_Z25scatter_to_blocked_kernelIfdLj512ELj4EEvPT_PT0_Pj
; %bb.0:
	s_clause 0x1
	s_load_b128 s[4:7], s[0:1], 0x0
	s_load_b64 s[0:1], s[0:1], 0x10
	s_mov_b32 s3, 0
	s_lshl_b32 s2, s15, 9
	v_lshlrev_b32_e32 v5, 4, v0
	s_lshl_b64 s[8:9], s[2:3], 2
	v_lshlrev_b32_e32 v9, 2, v0
	v_lshrrev_b32_e32 v14, 3, v0
	v_lshlrev_b32_e32 v0, 5, v0
	s_delay_alu instid0(VALU_DEP_2)
	v_add_lshl_u32 v9, v14, v9, 2
	s_waitcnt lgkmcnt(0)
	s_add_u32 s4, s4, s8
	s_addc_u32 s5, s5, s9
	s_add_u32 s0, s0, s8
	s_addc_u32 s1, s1, s9
	s_clause 0x1
	global_load_b128 v[1:4], v5, s[0:1]
	global_load_b128 v[5:8], v5, s[4:5]
	s_lshl_b64 s[0:1], s[2:3], 3
	s_delay_alu instid0(SALU_CYCLE_1)
	s_add_u32 s0, s6, s0
	s_addc_u32 s1, s7, s1
	s_waitcnt vmcnt(1)
	v_lshrrev_b32_e32 v10, 5, v1
	v_lshrrev_b32_e32 v11, 5, v2
	;; [unrolled: 1-line block ×4, first 2 shown]
	s_delay_alu instid0(VALU_DEP_4) | instskip(NEXT) | instid1(VALU_DEP_4)
	v_add_lshl_u32 v1, v10, v1, 2
	v_add_lshl_u32 v2, v11, v2, 2
	s_delay_alu instid0(VALU_DEP_4) | instskip(NEXT) | instid1(VALU_DEP_4)
	v_add_lshl_u32 v3, v12, v3, 2
	v_add_lshl_u32 v4, v13, v4, 2
	s_waitcnt vmcnt(0)
	ds_store_b32 v1, v5
	ds_store_b32 v2, v6
	;; [unrolled: 1-line block ×4, first 2 shown]
	s_waitcnt lgkmcnt(0)
	s_barrier
	buffer_gl0_inv
	ds_load_2addr_b32 v[2:3], v9 offset1:1
	ds_load_2addr_b32 v[6:7], v9 offset0:2 offset1:3
	s_waitcnt lgkmcnt(1)
	v_cvt_f64_f32_e32 v[1:2], v2
	v_cvt_f64_f32_e32 v[3:4], v3
	s_waitcnt lgkmcnt(0)
	v_cvt_f64_f32_e32 v[5:6], v6
	v_cvt_f64_f32_e32 v[7:8], v7
	s_clause 0x1
	global_store_b128 v0, v[1:4], s[0:1]
	global_store_b128 v0, v[5:8], s[0:1] offset:16
	s_nop 0
	s_sendmsg sendmsg(MSG_DEALLOC_VGPRS)
	s_endpgm
	.section	.rodata,"a",@progbits
	.p2align	6, 0x0
	.amdhsa_kernel _Z25scatter_to_blocked_kernelIfdLj512ELj4EEvPT_PT0_Pj
		.amdhsa_group_segment_fixed_size 2112
		.amdhsa_private_segment_fixed_size 0
		.amdhsa_kernarg_size 24
		.amdhsa_user_sgpr_count 15
		.amdhsa_user_sgpr_dispatch_ptr 0
		.amdhsa_user_sgpr_queue_ptr 0
		.amdhsa_user_sgpr_kernarg_segment_ptr 1
		.amdhsa_user_sgpr_dispatch_id 0
		.amdhsa_user_sgpr_private_segment_size 0
		.amdhsa_wavefront_size32 1
		.amdhsa_uses_dynamic_stack 0
		.amdhsa_enable_private_segment 0
		.amdhsa_system_sgpr_workgroup_id_x 1
		.amdhsa_system_sgpr_workgroup_id_y 0
		.amdhsa_system_sgpr_workgroup_id_z 0
		.amdhsa_system_sgpr_workgroup_info 0
		.amdhsa_system_vgpr_workitem_id 0
		.amdhsa_next_free_vgpr 15
		.amdhsa_next_free_sgpr 16
		.amdhsa_reserve_vcc 0
		.amdhsa_float_round_mode_32 0
		.amdhsa_float_round_mode_16_64 0
		.amdhsa_float_denorm_mode_32 3
		.amdhsa_float_denorm_mode_16_64 3
		.amdhsa_dx10_clamp 1
		.amdhsa_ieee_mode 1
		.amdhsa_fp16_overflow 0
		.amdhsa_workgroup_processor_mode 1
		.amdhsa_memory_ordered 1
		.amdhsa_forward_progress 0
		.amdhsa_shared_vgpr_count 0
		.amdhsa_exception_fp_ieee_invalid_op 0
		.amdhsa_exception_fp_denorm_src 0
		.amdhsa_exception_fp_ieee_div_zero 0
		.amdhsa_exception_fp_ieee_overflow 0
		.amdhsa_exception_fp_ieee_underflow 0
		.amdhsa_exception_fp_ieee_inexact 0
		.amdhsa_exception_int_div_zero 0
	.end_amdhsa_kernel
	.section	.text._Z25scatter_to_blocked_kernelIfdLj512ELj4EEvPT_PT0_Pj,"axG",@progbits,_Z25scatter_to_blocked_kernelIfdLj512ELj4EEvPT_PT0_Pj,comdat
.Lfunc_end93:
	.size	_Z25scatter_to_blocked_kernelIfdLj512ELj4EEvPT_PT0_Pj, .Lfunc_end93-_Z25scatter_to_blocked_kernelIfdLj512ELj4EEvPT_PT0_Pj
                                        ; -- End function
	.section	.AMDGPU.csdata,"",@progbits
; Kernel info:
; codeLenInByte = 300
; NumSgprs: 16
; NumVgprs: 15
; ScratchSize: 0
; MemoryBound: 0
; FloatMode: 240
; IeeeMode: 1
; LDSByteSize: 2112 bytes/workgroup (compile time only)
; SGPRBlocks: 1
; VGPRBlocks: 1
; NumSGPRsForWavesPerEU: 16
; NumVGPRsForWavesPerEU: 15
; Occupancy: 16
; WaveLimiterHint : 0
; COMPUTE_PGM_RSRC2:SCRATCH_EN: 0
; COMPUTE_PGM_RSRC2:USER_SGPR: 15
; COMPUTE_PGM_RSRC2:TRAP_HANDLER: 0
; COMPUTE_PGM_RSRC2:TGID_X_EN: 1
; COMPUTE_PGM_RSRC2:TGID_Y_EN: 0
; COMPUTE_PGM_RSRC2:TGID_Z_EN: 0
; COMPUTE_PGM_RSRC2:TIDIG_COMP_CNT: 0
	.section	.text._Z25scatter_to_blocked_kernelIiiLj512ELj4EEvPT_PT0_Pj,"axG",@progbits,_Z25scatter_to_blocked_kernelIiiLj512ELj4EEvPT_PT0_Pj,comdat
	.protected	_Z25scatter_to_blocked_kernelIiiLj512ELj4EEvPT_PT0_Pj ; -- Begin function _Z25scatter_to_blocked_kernelIiiLj512ELj4EEvPT_PT0_Pj
	.globl	_Z25scatter_to_blocked_kernelIiiLj512ELj4EEvPT_PT0_Pj
	.p2align	8
	.type	_Z25scatter_to_blocked_kernelIiiLj512ELj4EEvPT_PT0_Pj,@function
_Z25scatter_to_blocked_kernelIiiLj512ELj4EEvPT_PT0_Pj: ; @_Z25scatter_to_blocked_kernelIiiLj512ELj4EEvPT_PT0_Pj
; %bb.0:
	s_clause 0x1
	s_load_b128 s[4:7], s[0:1], 0x0
	s_load_b64 s[0:1], s[0:1], 0x10
	s_mov_b32 s3, 0
	s_lshl_b32 s2, s15, 9
	v_lshlrev_b32_e32 v9, 4, v0
	s_lshl_b64 s[2:3], s[2:3], 2
	v_lshlrev_b32_e32 v10, 2, v0
	v_lshrrev_b32_e32 v0, 3, v0
	s_delay_alu instid0(VALU_DEP_1)
	v_add_lshl_u32 v10, v0, v10, 2
	s_waitcnt lgkmcnt(0)
	s_add_u32 s4, s4, s2
	s_addc_u32 s5, s5, s3
	s_add_u32 s0, s0, s2
	s_addc_u32 s1, s1, s3
	s_clause 0x1
	global_load_b128 v[1:4], v9, s[0:1]
	global_load_b128 v[5:8], v9, s[4:5]
	s_add_u32 s0, s6, s2
	s_addc_u32 s1, s7, s3
	s_waitcnt vmcnt(1)
	v_lshrrev_b32_e32 v11, 5, v1
	v_lshrrev_b32_e32 v12, 5, v2
	;; [unrolled: 1-line block ×4, first 2 shown]
	s_delay_alu instid0(VALU_DEP_4) | instskip(NEXT) | instid1(VALU_DEP_4)
	v_add_lshl_u32 v1, v11, v1, 2
	v_add_lshl_u32 v2, v12, v2, 2
	s_delay_alu instid0(VALU_DEP_4) | instskip(NEXT) | instid1(VALU_DEP_4)
	v_add_lshl_u32 v3, v13, v3, 2
	v_add_lshl_u32 v4, v14, v4, 2
	s_waitcnt vmcnt(0)
	ds_store_b32 v1, v5
	ds_store_b32 v2, v6
	;; [unrolled: 1-line block ×4, first 2 shown]
	s_waitcnt lgkmcnt(0)
	s_barrier
	buffer_gl0_inv
	ds_load_2addr_b32 v[0:1], v10 offset1:1
	ds_load_2addr_b32 v[2:3], v10 offset0:2 offset1:3
	s_waitcnt lgkmcnt(0)
	global_store_b128 v9, v[0:3], s[0:1]
	s_nop 0
	s_sendmsg sendmsg(MSG_DEALLOC_VGPRS)
	s_endpgm
	.section	.rodata,"a",@progbits
	.p2align	6, 0x0
	.amdhsa_kernel _Z25scatter_to_blocked_kernelIiiLj512ELj4EEvPT_PT0_Pj
		.amdhsa_group_segment_fixed_size 2112
		.amdhsa_private_segment_fixed_size 0
		.amdhsa_kernarg_size 24
		.amdhsa_user_sgpr_count 15
		.amdhsa_user_sgpr_dispatch_ptr 0
		.amdhsa_user_sgpr_queue_ptr 0
		.amdhsa_user_sgpr_kernarg_segment_ptr 1
		.amdhsa_user_sgpr_dispatch_id 0
		.amdhsa_user_sgpr_private_segment_size 0
		.amdhsa_wavefront_size32 1
		.amdhsa_uses_dynamic_stack 0
		.amdhsa_enable_private_segment 0
		.amdhsa_system_sgpr_workgroup_id_x 1
		.amdhsa_system_sgpr_workgroup_id_y 0
		.amdhsa_system_sgpr_workgroup_id_z 0
		.amdhsa_system_sgpr_workgroup_info 0
		.amdhsa_system_vgpr_workitem_id 0
		.amdhsa_next_free_vgpr 15
		.amdhsa_next_free_sgpr 16
		.amdhsa_reserve_vcc 0
		.amdhsa_float_round_mode_32 0
		.amdhsa_float_round_mode_16_64 0
		.amdhsa_float_denorm_mode_32 3
		.amdhsa_float_denorm_mode_16_64 3
		.amdhsa_dx10_clamp 1
		.amdhsa_ieee_mode 1
		.amdhsa_fp16_overflow 0
		.amdhsa_workgroup_processor_mode 1
		.amdhsa_memory_ordered 1
		.amdhsa_forward_progress 0
		.amdhsa_shared_vgpr_count 0
		.amdhsa_exception_fp_ieee_invalid_op 0
		.amdhsa_exception_fp_denorm_src 0
		.amdhsa_exception_fp_ieee_div_zero 0
		.amdhsa_exception_fp_ieee_overflow 0
		.amdhsa_exception_fp_ieee_underflow 0
		.amdhsa_exception_fp_ieee_inexact 0
		.amdhsa_exception_int_div_zero 0
	.end_amdhsa_kernel
	.section	.text._Z25scatter_to_blocked_kernelIiiLj512ELj4EEvPT_PT0_Pj,"axG",@progbits,_Z25scatter_to_blocked_kernelIiiLj512ELj4EEvPT_PT0_Pj,comdat
.Lfunc_end94:
	.size	_Z25scatter_to_blocked_kernelIiiLj512ELj4EEvPT_PT0_Pj, .Lfunc_end94-_Z25scatter_to_blocked_kernelIiiLj512ELj4EEvPT_PT0_Pj
                                        ; -- End function
	.section	.AMDGPU.csdata,"",@progbits
; Kernel info:
; codeLenInByte = 256
; NumSgprs: 16
; NumVgprs: 15
; ScratchSize: 0
; MemoryBound: 0
; FloatMode: 240
; IeeeMode: 1
; LDSByteSize: 2112 bytes/workgroup (compile time only)
; SGPRBlocks: 1
; VGPRBlocks: 1
; NumSGPRsForWavesPerEU: 16
; NumVGPRsForWavesPerEU: 15
; Occupancy: 16
; WaveLimiterHint : 0
; COMPUTE_PGM_RSRC2:SCRATCH_EN: 0
; COMPUTE_PGM_RSRC2:USER_SGPR: 15
; COMPUTE_PGM_RSRC2:TRAP_HANDLER: 0
; COMPUTE_PGM_RSRC2:TGID_X_EN: 1
; COMPUTE_PGM_RSRC2:TGID_Y_EN: 0
; COMPUTE_PGM_RSRC2:TGID_Z_EN: 0
; COMPUTE_PGM_RSRC2:TIDIG_COMP_CNT: 0
	.section	.text._Z25scatter_to_striped_kernelIsiLj2106ELj9EEvPT_PT0_Pj,"axG",@progbits,_Z25scatter_to_striped_kernelIsiLj2106ELj9EEvPT_PT0_Pj,comdat
	.protected	_Z25scatter_to_striped_kernelIsiLj2106ELj9EEvPT_PT0_Pj ; -- Begin function _Z25scatter_to_striped_kernelIsiLj2106ELj9EEvPT_PT0_Pj
	.globl	_Z25scatter_to_striped_kernelIsiLj2106ELj9EEvPT_PT0_Pj
	.p2align	8
	.type	_Z25scatter_to_striped_kernelIsiLj2106ELj9EEvPT_PT0_Pj,@function
_Z25scatter_to_striped_kernelIsiLj2106ELj9EEvPT_PT0_Pj: ; @_Z25scatter_to_striped_kernelIsiLj2106ELj9EEvPT_PT0_Pj
; %bb.0:
	s_clause 0x1
	s_load_b128 s[4:7], s[0:1], 0x0
	s_load_b64 s[0:1], s[0:1], 0x10
	v_mul_u32_u24_e32 v9, 9, v0
	s_mov_b32 s3, 0
	s_mul_i32 s2, s15, 0x83a
	v_lshlrev_b32_e32 v16, 1, v0
	s_lshl_b64 s[8:9], s[2:3], 1
	v_lshlrev_b32_e32 v13, 2, v9
	v_lshlrev_b32_e32 v14, 1, v9
	s_waitcnt lgkmcnt(0)
	s_add_u32 s4, s4, s8
	s_addc_u32 s5, s5, s9
	s_lshl_b64 s[2:3], s[2:3], 2
	s_delay_alu instid0(SALU_CYCLE_1)
	s_add_u32 s0, s0, s2
	s_addc_u32 s1, s1, s3
	s_clause 0x2
	global_load_b128 v[1:4], v13, s[0:1]
	global_load_b128 v[5:8], v13, s[0:1] offset:16
	global_load_b32 v15, v13, s[0:1] offset:32
	s_clause 0x1
	global_load_b128 v[9:12], v14, s[4:5]
	global_load_u16 v14, v14, s[4:5] offset:16
	s_add_u32 s0, s6, s2
	s_addc_u32 s1, s7, s3
	s_waitcnt vmcnt(4)
	v_lshlrev_b32_e32 v0, 1, v1
	v_lshlrev_b32_e32 v1, 1, v2
	v_lshlrev_b32_e32 v2, 1, v3
	v_lshlrev_b32_e32 v3, 1, v4
	s_waitcnt vmcnt(3)
	v_lshlrev_b32_e32 v4, 1, v5
	v_lshlrev_b32_e32 v5, 1, v6
	;; [unrolled: 1-line block ×4, first 2 shown]
	s_waitcnt vmcnt(2)
	v_lshlrev_b32_e32 v8, 1, v15
	s_waitcnt vmcnt(1)
	ds_store_b16 v0, v9
	ds_store_b16_d16_hi v1, v9
	ds_store_b16 v2, v10
	ds_store_b16_d16_hi v3, v10
	;; [unrolled: 2-line block ×4, first 2 shown]
	s_waitcnt vmcnt(0)
	ds_store_b16 v8, v14
	s_waitcnt lgkmcnt(0)
	s_barrier
	buffer_gl0_inv
	ds_load_i16 v0, v16
	ds_load_i16 v1, v16 offset:468
	ds_load_i16 v2, v16 offset:936
	;; [unrolled: 1-line block ×8, first 2 shown]
	s_waitcnt lgkmcnt(5)
	global_store_b128 v13, v[0:3], s[0:1]
	s_waitcnt lgkmcnt(1)
	global_store_b128 v13, v[4:7], s[0:1] offset:16
	s_waitcnt lgkmcnt(0)
	global_store_b32 v13, v8, s[0:1] offset:32
	s_nop 0
	s_sendmsg sendmsg(MSG_DEALLOC_VGPRS)
	s_endpgm
	.section	.rodata,"a",@progbits
	.p2align	6, 0x0
	.amdhsa_kernel _Z25scatter_to_striped_kernelIsiLj2106ELj9EEvPT_PT0_Pj
		.amdhsa_group_segment_fixed_size 4224
		.amdhsa_private_segment_fixed_size 0
		.amdhsa_kernarg_size 24
		.amdhsa_user_sgpr_count 15
		.amdhsa_user_sgpr_dispatch_ptr 0
		.amdhsa_user_sgpr_queue_ptr 0
		.amdhsa_user_sgpr_kernarg_segment_ptr 1
		.amdhsa_user_sgpr_dispatch_id 0
		.amdhsa_user_sgpr_private_segment_size 0
		.amdhsa_wavefront_size32 1
		.amdhsa_uses_dynamic_stack 0
		.amdhsa_enable_private_segment 0
		.amdhsa_system_sgpr_workgroup_id_x 1
		.amdhsa_system_sgpr_workgroup_id_y 0
		.amdhsa_system_sgpr_workgroup_id_z 0
		.amdhsa_system_sgpr_workgroup_info 0
		.amdhsa_system_vgpr_workitem_id 0
		.amdhsa_next_free_vgpr 17
		.amdhsa_next_free_sgpr 16
		.amdhsa_reserve_vcc 0
		.amdhsa_float_round_mode_32 0
		.amdhsa_float_round_mode_16_64 0
		.amdhsa_float_denorm_mode_32 3
		.amdhsa_float_denorm_mode_16_64 3
		.amdhsa_dx10_clamp 1
		.amdhsa_ieee_mode 1
		.amdhsa_fp16_overflow 0
		.amdhsa_workgroup_processor_mode 1
		.amdhsa_memory_ordered 1
		.amdhsa_forward_progress 0
		.amdhsa_shared_vgpr_count 0
		.amdhsa_exception_fp_ieee_invalid_op 0
		.amdhsa_exception_fp_denorm_src 0
		.amdhsa_exception_fp_ieee_div_zero 0
		.amdhsa_exception_fp_ieee_overflow 0
		.amdhsa_exception_fp_ieee_underflow 0
		.amdhsa_exception_fp_ieee_inexact 0
		.amdhsa_exception_int_div_zero 0
	.end_amdhsa_kernel
	.section	.text._Z25scatter_to_striped_kernelIsiLj2106ELj9EEvPT_PT0_Pj,"axG",@progbits,_Z25scatter_to_striped_kernelIsiLj2106ELj9EEvPT_PT0_Pj,comdat
.Lfunc_end95:
	.size	_Z25scatter_to_striped_kernelIsiLj2106ELj9EEvPT_PT0_Pj, .Lfunc_end95-_Z25scatter_to_striped_kernelIsiLj2106ELj9EEvPT_PT0_Pj
                                        ; -- End function
	.section	.AMDGPU.csdata,"",@progbits
; Kernel info:
; codeLenInByte = 400
; NumSgprs: 16
; NumVgprs: 17
; ScratchSize: 0
; MemoryBound: 0
; FloatMode: 240
; IeeeMode: 1
; LDSByteSize: 4224 bytes/workgroup (compile time only)
; SGPRBlocks: 1
; VGPRBlocks: 2
; NumSGPRsForWavesPerEU: 16
; NumVGPRsForWavesPerEU: 17
; Occupancy: 16
; WaveLimiterHint : 0
; COMPUTE_PGM_RSRC2:SCRATCH_EN: 0
; COMPUTE_PGM_RSRC2:USER_SGPR: 15
; COMPUTE_PGM_RSRC2:TRAP_HANDLER: 0
; COMPUTE_PGM_RSRC2:TGID_X_EN: 1
; COMPUTE_PGM_RSRC2:TGID_Y_EN: 0
; COMPUTE_PGM_RSRC2:TGID_Z_EN: 0
; COMPUTE_PGM_RSRC2:TIDIG_COMP_CNT: 0
	.section	.text._Z25scatter_to_striped_kernelItjLj300ELj3EEvPT_PT0_Pj,"axG",@progbits,_Z25scatter_to_striped_kernelItjLj300ELj3EEvPT_PT0_Pj,comdat
	.protected	_Z25scatter_to_striped_kernelItjLj300ELj3EEvPT_PT0_Pj ; -- Begin function _Z25scatter_to_striped_kernelItjLj300ELj3EEvPT_PT0_Pj
	.globl	_Z25scatter_to_striped_kernelItjLj300ELj3EEvPT_PT0_Pj
	.p2align	8
	.type	_Z25scatter_to_striped_kernelItjLj300ELj3EEvPT_PT0_Pj,@function
_Z25scatter_to_striped_kernelItjLj300ELj3EEvPT_PT0_Pj: ; @_Z25scatter_to_striped_kernelItjLj300ELj3EEvPT_PT0_Pj
; %bb.0:
	s_clause 0x1
	s_load_b128 s[4:7], s[0:1], 0x0
	s_load_b64 s[0:1], s[0:1], 0x10
	v_mul_u32_u24_e32 v1, 3, v0
	s_mov_b32 s3, 0
	s_mul_i32 s2, s15, 0x12c
	v_lshlrev_b32_e32 v7, 1, v0
	s_lshl_b64 s[8:9], s[2:3], 1
	v_lshlrev_b32_e32 v4, 2, v1
	v_lshlrev_b32_e32 v5, 1, v1
	s_waitcnt lgkmcnt(0)
	s_add_u32 s4, s4, s8
	s_addc_u32 s5, s5, s9
	s_lshl_b64 s[2:3], s[2:3], 2
	s_delay_alu instid0(SALU_CYCLE_1)
	s_add_u32 s0, s0, s2
	s_addc_u32 s1, s1, s3
	global_load_b96 v[1:3], v4, s[0:1]
	s_clause 0x1
	global_load_b32 v6, v5, s[4:5]
	global_load_u16 v5, v5, s[4:5] offset:4
	s_add_u32 s0, s6, s2
	s_addc_u32 s1, s7, s3
	s_waitcnt vmcnt(2)
	v_lshlrev_b32_e32 v1, 1, v1
	v_lshlrev_b32_e32 v2, 1, v2
	;; [unrolled: 1-line block ×3, first 2 shown]
	s_waitcnt vmcnt(1)
	ds_store_b16 v1, v6
	ds_store_b16_d16_hi v2, v6
	s_waitcnt vmcnt(0)
	ds_store_b16 v3, v5
	s_waitcnt lgkmcnt(0)
	s_barrier
	buffer_gl0_inv
	ds_load_u16 v0, v7
	ds_load_u16 v1, v7 offset:200
	ds_load_u16 v2, v7 offset:400
	s_waitcnt lgkmcnt(0)
	global_store_b96 v4, v[0:2], s[0:1]
	s_nop 0
	s_sendmsg sendmsg(MSG_DEALLOC_VGPRS)
	s_endpgm
	.section	.rodata,"a",@progbits
	.p2align	6, 0x0
	.amdhsa_kernel _Z25scatter_to_striped_kernelItjLj300ELj3EEvPT_PT0_Pj
		.amdhsa_group_segment_fixed_size 608
		.amdhsa_private_segment_fixed_size 0
		.amdhsa_kernarg_size 24
		.amdhsa_user_sgpr_count 15
		.amdhsa_user_sgpr_dispatch_ptr 0
		.amdhsa_user_sgpr_queue_ptr 0
		.amdhsa_user_sgpr_kernarg_segment_ptr 1
		.amdhsa_user_sgpr_dispatch_id 0
		.amdhsa_user_sgpr_private_segment_size 0
		.amdhsa_wavefront_size32 1
		.amdhsa_uses_dynamic_stack 0
		.amdhsa_enable_private_segment 0
		.amdhsa_system_sgpr_workgroup_id_x 1
		.amdhsa_system_sgpr_workgroup_id_y 0
		.amdhsa_system_sgpr_workgroup_id_z 0
		.amdhsa_system_sgpr_workgroup_info 0
		.amdhsa_system_vgpr_workitem_id 0
		.amdhsa_next_free_vgpr 8
		.amdhsa_next_free_sgpr 16
		.amdhsa_reserve_vcc 0
		.amdhsa_float_round_mode_32 0
		.amdhsa_float_round_mode_16_64 0
		.amdhsa_float_denorm_mode_32 3
		.amdhsa_float_denorm_mode_16_64 3
		.amdhsa_dx10_clamp 1
		.amdhsa_ieee_mode 1
		.amdhsa_fp16_overflow 0
		.amdhsa_workgroup_processor_mode 1
		.amdhsa_memory_ordered 1
		.amdhsa_forward_progress 0
		.amdhsa_shared_vgpr_count 0
		.amdhsa_exception_fp_ieee_invalid_op 0
		.amdhsa_exception_fp_denorm_src 0
		.amdhsa_exception_fp_ieee_div_zero 0
		.amdhsa_exception_fp_ieee_overflow 0
		.amdhsa_exception_fp_ieee_underflow 0
		.amdhsa_exception_fp_ieee_inexact 0
		.amdhsa_exception_int_div_zero 0
	.end_amdhsa_kernel
	.section	.text._Z25scatter_to_striped_kernelItjLj300ELj3EEvPT_PT0_Pj,"axG",@progbits,_Z25scatter_to_striped_kernelItjLj300ELj3EEvPT_PT0_Pj,comdat
.Lfunc_end96:
	.size	_Z25scatter_to_striped_kernelItjLj300ELj3EEvPT_PT0_Pj, .Lfunc_end96-_Z25scatter_to_striped_kernelItjLj300ELj3EEvPT_PT0_Pj
                                        ; -- End function
	.section	.AMDGPU.csdata,"",@progbits
; Kernel info:
; codeLenInByte = 228
; NumSgprs: 16
; NumVgprs: 8
; ScratchSize: 0
; MemoryBound: 0
; FloatMode: 240
; IeeeMode: 1
; LDSByteSize: 608 bytes/workgroup (compile time only)
; SGPRBlocks: 1
; VGPRBlocks: 0
; NumSGPRsForWavesPerEU: 16
; NumVGPRsForWavesPerEU: 8
; Occupancy: 16
; WaveLimiterHint : 0
; COMPUTE_PGM_RSRC2:SCRATCH_EN: 0
; COMPUTE_PGM_RSRC2:USER_SGPR: 15
; COMPUTE_PGM_RSRC2:TRAP_HANDLER: 0
; COMPUTE_PGM_RSRC2:TGID_X_EN: 1
; COMPUTE_PGM_RSRC2:TGID_Y_EN: 0
; COMPUTE_PGM_RSRC2:TGID_Z_EN: 0
; COMPUTE_PGM_RSRC2:TIDIG_COMP_CNT: 0
	.section	.text._Z25scatter_to_striped_kernelIc5dummyIdELj928ELj2EEvPT_PT0_Pj,"axG",@progbits,_Z25scatter_to_striped_kernelIc5dummyIdELj928ELj2EEvPT_PT0_Pj,comdat
	.protected	_Z25scatter_to_striped_kernelIc5dummyIdELj928ELj2EEvPT_PT0_Pj ; -- Begin function _Z25scatter_to_striped_kernelIc5dummyIdELj928ELj2EEvPT_PT0_Pj
	.globl	_Z25scatter_to_striped_kernelIc5dummyIdELj928ELj2EEvPT_PT0_Pj
	.p2align	8
	.type	_Z25scatter_to_striped_kernelIc5dummyIdELj928ELj2EEvPT_PT0_Pj,@function
_Z25scatter_to_striped_kernelIc5dummyIdELj928ELj2EEvPT_PT0_Pj: ; @_Z25scatter_to_striped_kernelIc5dummyIdELj928ELj2EEvPT_PT0_Pj
; %bb.0:
	s_clause 0x1
	s_load_b128 s[4:7], s[0:1], 0x0
	s_load_b64 s[0:1], s[0:1], 0x10
	s_mul_i32 s2, s15, 0x3a0
	v_lshlrev_b32_e32 v1, 1, v0
	s_mov_b32 s3, 0
	v_lshlrev_b32_e32 v2, 3, v0
	s_waitcnt lgkmcnt(0)
	s_add_u32 s4, s4, s2
	s_addc_u32 s5, s5, 0
	s_lshl_b64 s[8:9], s[2:3], 2
	global_load_u16 v3, v1, s[4:5]
	s_add_u32 s0, s0, s8
	s_addc_u32 s1, s1, s9
	global_load_b64 v[1:2], v2, s[0:1]
	s_lshl_b64 s[0:1], s[2:3], 4
	s_delay_alu instid0(SALU_CYCLE_1)
	s_add_u32 s0, s6, s0
	s_addc_u32 s1, s7, s1
	s_waitcnt vmcnt(1)
	v_lshrrev_b16 v4, 8, v3
	s_waitcnt vmcnt(0)
	ds_store_b8 v1, v3
	ds_store_b8 v2, v4
	s_waitcnt lgkmcnt(0)
	s_barrier
	buffer_gl0_inv
	ds_load_i8 v1, v0
	ds_load_i8 v2, v0 offset:464
	v_lshlrev_b32_e32 v0, 5, v0
	s_waitcnt lgkmcnt(1)
	v_add_nc_u32_e32 v3, 1, v1
	v_lshlrev_b32_e32 v4, 1, v1
	s_waitcnt lgkmcnt(0)
	v_add_nc_u32_e32 v5, 1, v2
	v_lshlrev_b32_e32 v7, 1, v2
	v_cvt_f64_i32_e32 v[1:2], v3
	v_cvt_f64_i32_e32 v[3:4], v4
	s_delay_alu instid0(VALU_DEP_4) | instskip(NEXT) | instid1(VALU_DEP_4)
	v_cvt_f64_i32_e32 v[5:6], v5
	v_cvt_f64_i32_e32 v[7:8], v7
	s_clause 0x1
	global_store_b128 v0, v[1:4], s[0:1]
	global_store_b128 v0, v[5:8], s[0:1] offset:16
	s_nop 0
	s_sendmsg sendmsg(MSG_DEALLOC_VGPRS)
	s_endpgm
	.section	.rodata,"a",@progbits
	.p2align	6, 0x0
	.amdhsa_kernel _Z25scatter_to_striped_kernelIc5dummyIdELj928ELj2EEvPT_PT0_Pj
		.amdhsa_group_segment_fixed_size 960
		.amdhsa_private_segment_fixed_size 0
		.amdhsa_kernarg_size 24
		.amdhsa_user_sgpr_count 15
		.amdhsa_user_sgpr_dispatch_ptr 0
		.amdhsa_user_sgpr_queue_ptr 0
		.amdhsa_user_sgpr_kernarg_segment_ptr 1
		.amdhsa_user_sgpr_dispatch_id 0
		.amdhsa_user_sgpr_private_segment_size 0
		.amdhsa_wavefront_size32 1
		.amdhsa_uses_dynamic_stack 0
		.amdhsa_enable_private_segment 0
		.amdhsa_system_sgpr_workgroup_id_x 1
		.amdhsa_system_sgpr_workgroup_id_y 0
		.amdhsa_system_sgpr_workgroup_id_z 0
		.amdhsa_system_sgpr_workgroup_info 0
		.amdhsa_system_vgpr_workitem_id 0
		.amdhsa_next_free_vgpr 9
		.amdhsa_next_free_sgpr 16
		.amdhsa_reserve_vcc 0
		.amdhsa_float_round_mode_32 0
		.amdhsa_float_round_mode_16_64 0
		.amdhsa_float_denorm_mode_32 3
		.amdhsa_float_denorm_mode_16_64 3
		.amdhsa_dx10_clamp 1
		.amdhsa_ieee_mode 1
		.amdhsa_fp16_overflow 0
		.amdhsa_workgroup_processor_mode 1
		.amdhsa_memory_ordered 1
		.amdhsa_forward_progress 0
		.amdhsa_shared_vgpr_count 0
		.amdhsa_exception_fp_ieee_invalid_op 0
		.amdhsa_exception_fp_denorm_src 0
		.amdhsa_exception_fp_ieee_div_zero 0
		.amdhsa_exception_fp_ieee_overflow 0
		.amdhsa_exception_fp_ieee_underflow 0
		.amdhsa_exception_fp_ieee_inexact 0
		.amdhsa_exception_int_div_zero 0
	.end_amdhsa_kernel
	.section	.text._Z25scatter_to_striped_kernelIc5dummyIdELj928ELj2EEvPT_PT0_Pj,"axG",@progbits,_Z25scatter_to_striped_kernelIc5dummyIdELj928ELj2EEvPT_PT0_Pj,comdat
.Lfunc_end97:
	.size	_Z25scatter_to_striped_kernelIc5dummyIdELj928ELj2EEvPT_PT0_Pj, .Lfunc_end97-_Z25scatter_to_striped_kernelIc5dummyIdELj928ELj2EEvPT_PT0_Pj
                                        ; -- End function
	.section	.AMDGPU.csdata,"",@progbits
; Kernel info:
; codeLenInByte = 240
; NumSgprs: 16
; NumVgprs: 9
; ScratchSize: 0
; MemoryBound: 0
; FloatMode: 240
; IeeeMode: 1
; LDSByteSize: 960 bytes/workgroup (compile time only)
; SGPRBlocks: 1
; VGPRBlocks: 1
; NumSGPRsForWavesPerEU: 16
; NumVGPRsForWavesPerEU: 9
; Occupancy: 16
; WaveLimiterHint : 0
; COMPUTE_PGM_RSRC2:SCRATCH_EN: 0
; COMPUTE_PGM_RSRC2:USER_SGPR: 15
; COMPUTE_PGM_RSRC2:TRAP_HANDLER: 0
; COMPUTE_PGM_RSRC2:TGID_X_EN: 1
; COMPUTE_PGM_RSRC2:TGID_Y_EN: 0
; COMPUTE_PGM_RSRC2:TGID_Z_EN: 0
; COMPUTE_PGM_RSRC2:TIDIG_COMP_CNT: 0
	.section	.text._Z25scatter_to_striped_kernelIfiLj165ELj5EEvPT_PT0_Pj,"axG",@progbits,_Z25scatter_to_striped_kernelIfiLj165ELj5EEvPT_PT0_Pj,comdat
	.protected	_Z25scatter_to_striped_kernelIfiLj165ELj5EEvPT_PT0_Pj ; -- Begin function _Z25scatter_to_striped_kernelIfiLj165ELj5EEvPT_PT0_Pj
	.globl	_Z25scatter_to_striped_kernelIfiLj165ELj5EEvPT_PT0_Pj
	.p2align	8
	.type	_Z25scatter_to_striped_kernelIfiLj165ELj5EEvPT_PT0_Pj,@function
_Z25scatter_to_striped_kernelIfiLj165ELj5EEvPT_PT0_Pj: ; @_Z25scatter_to_striped_kernelIfiLj165ELj5EEvPT_PT0_Pj
; %bb.0:
	s_clause 0x1
	s_load_b128 s[4:7], s[0:1], 0x0
	s_load_b64 s[0:1], s[0:1], 0x10
	v_mul_u32_u24_e32 v1, 5, v0
	s_mov_b32 s3, 0
	s_mul_i32 s2, s15, 0xa5
	v_lshlrev_b32_e32 v12, 2, v0
	s_lshl_b64 s[2:3], s[2:3], 2
	v_lshlrev_b32_e32 v9, 2, v1
	s_waitcnt lgkmcnt(0)
	s_add_u32 s4, s4, s2
	s_addc_u32 s5, s5, s3
	s_add_u32 s0, s0, s2
	s_addc_u32 s1, s1, s3
	s_clause 0x3
	global_load_b128 v[1:4], v9, s[0:1]
	global_load_b32 v10, v9, s[0:1] offset:16
	global_load_b128 v[5:8], v9, s[4:5]
	global_load_b32 v11, v9, s[4:5] offset:16
	s_add_u32 s0, s6, s2
	s_addc_u32 s1, s7, s3
	s_waitcnt vmcnt(3)
	v_lshlrev_b32_e32 v0, 2, v1
	v_lshlrev_b32_e32 v1, 2, v2
	v_lshlrev_b32_e32 v2, 2, v3
	v_lshlrev_b32_e32 v3, 2, v4
	s_waitcnt vmcnt(2)
	v_lshlrev_b32_e32 v4, 2, v10
	s_waitcnt vmcnt(1)
	ds_store_b32 v0, v5
	ds_store_b32 v1, v6
	ds_store_b32 v2, v7
	ds_store_b32 v3, v8
	s_waitcnt vmcnt(0)
	ds_store_b32 v4, v11
	s_waitcnt lgkmcnt(0)
	s_barrier
	buffer_gl0_inv
	ds_load_2addr_b32 v[0:1], v12 offset1:33
	ds_load_2addr_b32 v[2:3], v12 offset0:66 offset1:99
	ds_load_b32 v4, v12 offset:528
	s_waitcnt lgkmcnt(2)
	v_cvt_i32_f32_e32 v0, v0
	v_cvt_i32_f32_e32 v1, v1
	s_waitcnt lgkmcnt(1)
	v_cvt_i32_f32_e32 v2, v2
	v_cvt_i32_f32_e32 v3, v3
	s_waitcnt lgkmcnt(0)
	v_cvt_i32_f32_e32 v4, v4
	s_clause 0x1
	global_store_b128 v9, v[0:3], s[0:1]
	global_store_b32 v9, v4, s[0:1] offset:16
	s_nop 0
	s_sendmsg sendmsg(MSG_DEALLOC_VGPRS)
	s_endpgm
	.section	.rodata,"a",@progbits
	.p2align	6, 0x0
	.amdhsa_kernel _Z25scatter_to_striped_kernelIfiLj165ELj5EEvPT_PT0_Pj
		.amdhsa_group_segment_fixed_size 672
		.amdhsa_private_segment_fixed_size 0
		.amdhsa_kernarg_size 24
		.amdhsa_user_sgpr_count 15
		.amdhsa_user_sgpr_dispatch_ptr 0
		.amdhsa_user_sgpr_queue_ptr 0
		.amdhsa_user_sgpr_kernarg_segment_ptr 1
		.amdhsa_user_sgpr_dispatch_id 0
		.amdhsa_user_sgpr_private_segment_size 0
		.amdhsa_wavefront_size32 1
		.amdhsa_uses_dynamic_stack 0
		.amdhsa_enable_private_segment 0
		.amdhsa_system_sgpr_workgroup_id_x 1
		.amdhsa_system_sgpr_workgroup_id_y 0
		.amdhsa_system_sgpr_workgroup_id_z 0
		.amdhsa_system_sgpr_workgroup_info 0
		.amdhsa_system_vgpr_workitem_id 0
		.amdhsa_next_free_vgpr 13
		.amdhsa_next_free_sgpr 16
		.amdhsa_reserve_vcc 0
		.amdhsa_float_round_mode_32 0
		.amdhsa_float_round_mode_16_64 0
		.amdhsa_float_denorm_mode_32 3
		.amdhsa_float_denorm_mode_16_64 3
		.amdhsa_dx10_clamp 1
		.amdhsa_ieee_mode 1
		.amdhsa_fp16_overflow 0
		.amdhsa_workgroup_processor_mode 1
		.amdhsa_memory_ordered 1
		.amdhsa_forward_progress 0
		.amdhsa_shared_vgpr_count 0
		.amdhsa_exception_fp_ieee_invalid_op 0
		.amdhsa_exception_fp_denorm_src 0
		.amdhsa_exception_fp_ieee_div_zero 0
		.amdhsa_exception_fp_ieee_overflow 0
		.amdhsa_exception_fp_ieee_underflow 0
		.amdhsa_exception_fp_ieee_inexact 0
		.amdhsa_exception_int_div_zero 0
	.end_amdhsa_kernel
	.section	.text._Z25scatter_to_striped_kernelIfiLj165ELj5EEvPT_PT0_Pj,"axG",@progbits,_Z25scatter_to_striped_kernelIfiLj165ELj5EEvPT_PT0_Pj,comdat
.Lfunc_end98:
	.size	_Z25scatter_to_striped_kernelIfiLj165ELj5EEvPT_PT0_Pj, .Lfunc_end98-_Z25scatter_to_striped_kernelIfiLj165ELj5EEvPT_PT0_Pj
                                        ; -- End function
	.section	.AMDGPU.csdata,"",@progbits
; Kernel info:
; codeLenInByte = 292
; NumSgprs: 16
; NumVgprs: 13
; ScratchSize: 0
; MemoryBound: 0
; FloatMode: 240
; IeeeMode: 1
; LDSByteSize: 672 bytes/workgroup (compile time only)
; SGPRBlocks: 1
; VGPRBlocks: 1
; NumSGPRsForWavesPerEU: 16
; NumVGPRsForWavesPerEU: 13
; Occupancy: 16
; WaveLimiterHint : 0
; COMPUTE_PGM_RSRC2:SCRATCH_EN: 0
; COMPUTE_PGM_RSRC2:USER_SGPR: 15
; COMPUTE_PGM_RSRC2:TRAP_HANDLER: 0
; COMPUTE_PGM_RSRC2:TGID_X_EN: 1
; COMPUTE_PGM_RSRC2:TGID_Y_EN: 0
; COMPUTE_PGM_RSRC2:TGID_Z_EN: 0
; COMPUTE_PGM_RSRC2:TIDIG_COMP_CNT: 0
	.section	.text._Z25scatter_to_striped_kernelIidLj165ELj5EEvPT_PT0_Pj,"axG",@progbits,_Z25scatter_to_striped_kernelIidLj165ELj5EEvPT_PT0_Pj,comdat
	.protected	_Z25scatter_to_striped_kernelIidLj165ELj5EEvPT_PT0_Pj ; -- Begin function _Z25scatter_to_striped_kernelIidLj165ELj5EEvPT_PT0_Pj
	.globl	_Z25scatter_to_striped_kernelIidLj165ELj5EEvPT_PT0_Pj
	.p2align	8
	.type	_Z25scatter_to_striped_kernelIidLj165ELj5EEvPT_PT0_Pj,@function
_Z25scatter_to_striped_kernelIidLj165ELj5EEvPT_PT0_Pj: ; @_Z25scatter_to_striped_kernelIidLj165ELj5EEvPT_PT0_Pj
; %bb.0:
	s_clause 0x1
	s_load_b128 s[4:7], s[0:1], 0x0
	s_load_b64 s[0:1], s[0:1], 0x10
	v_mul_u32_u24_e32 v10, 5, v0
	s_mov_b32 s3, 0
	s_mul_i32 s2, s15, 0xa5
	v_lshlrev_b32_e32 v0, 2, v0
	s_lshl_b64 s[8:9], s[2:3], 2
	v_lshlrev_b32_e32 v9, 2, v10
	v_lshlrev_b32_e32 v10, 3, v10
	s_waitcnt lgkmcnt(0)
	s_add_u32 s4, s4, s8
	s_addc_u32 s5, s5, s9
	s_add_u32 s0, s0, s8
	s_addc_u32 s1, s1, s9
	s_clause 0x3
	global_load_b128 v[1:4], v9, s[0:1]
	global_load_b32 v11, v9, s[0:1] offset:16
	global_load_b128 v[5:8], v9, s[4:5]
	global_load_b32 v9, v9, s[4:5] offset:16
	s_lshl_b64 s[0:1], s[2:3], 3
	s_delay_alu instid0(SALU_CYCLE_1)
	s_add_u32 s0, s6, s0
	s_addc_u32 s1, s7, s1
	s_waitcnt vmcnt(3)
	v_lshlrev_b32_e32 v1, 2, v1
	v_lshlrev_b32_e32 v2, 2, v2
	;; [unrolled: 1-line block ×4, first 2 shown]
	s_waitcnt vmcnt(2)
	v_lshlrev_b32_e32 v11, 2, v11
	s_waitcnt vmcnt(1)
	ds_store_b32 v1, v5
	ds_store_b32 v2, v6
	;; [unrolled: 1-line block ×4, first 2 shown]
	s_waitcnt vmcnt(0)
	ds_store_b32 v11, v9
	s_waitcnt lgkmcnt(0)
	s_barrier
	buffer_gl0_inv
	ds_load_2addr_b32 v[1:2], v0 offset1:33
	ds_load_2addr_b32 v[5:6], v0 offset0:66 offset1:99
	ds_load_b32 v8, v0 offset:528
	s_waitcnt lgkmcnt(2)
	v_cvt_f64_i32_e32 v[0:1], v1
	v_cvt_f64_i32_e32 v[2:3], v2
	s_waitcnt lgkmcnt(1)
	v_cvt_f64_i32_e32 v[4:5], v5
	v_cvt_f64_i32_e32 v[6:7], v6
	s_waitcnt lgkmcnt(0)
	v_cvt_f64_i32_e32 v[8:9], v8
	s_clause 0x2
	global_store_b128 v10, v[0:3], s[0:1]
	global_store_b128 v10, v[4:7], s[0:1] offset:16
	global_store_b64 v10, v[8:9], s[0:1] offset:32
	s_nop 0
	s_sendmsg sendmsg(MSG_DEALLOC_VGPRS)
	s_endpgm
	.section	.rodata,"a",@progbits
	.p2align	6, 0x0
	.amdhsa_kernel _Z25scatter_to_striped_kernelIidLj165ELj5EEvPT_PT0_Pj
		.amdhsa_group_segment_fixed_size 672
		.amdhsa_private_segment_fixed_size 0
		.amdhsa_kernarg_size 24
		.amdhsa_user_sgpr_count 15
		.amdhsa_user_sgpr_dispatch_ptr 0
		.amdhsa_user_sgpr_queue_ptr 0
		.amdhsa_user_sgpr_kernarg_segment_ptr 1
		.amdhsa_user_sgpr_dispatch_id 0
		.amdhsa_user_sgpr_private_segment_size 0
		.amdhsa_wavefront_size32 1
		.amdhsa_uses_dynamic_stack 0
		.amdhsa_enable_private_segment 0
		.amdhsa_system_sgpr_workgroup_id_x 1
		.amdhsa_system_sgpr_workgroup_id_y 0
		.amdhsa_system_sgpr_workgroup_id_z 0
		.amdhsa_system_sgpr_workgroup_info 0
		.amdhsa_system_vgpr_workitem_id 0
		.amdhsa_next_free_vgpr 12
		.amdhsa_next_free_sgpr 16
		.amdhsa_reserve_vcc 0
		.amdhsa_float_round_mode_32 0
		.amdhsa_float_round_mode_16_64 0
		.amdhsa_float_denorm_mode_32 3
		.amdhsa_float_denorm_mode_16_64 3
		.amdhsa_dx10_clamp 1
		.amdhsa_ieee_mode 1
		.amdhsa_fp16_overflow 0
		.amdhsa_workgroup_processor_mode 1
		.amdhsa_memory_ordered 1
		.amdhsa_forward_progress 0
		.amdhsa_shared_vgpr_count 0
		.amdhsa_exception_fp_ieee_invalid_op 0
		.amdhsa_exception_fp_denorm_src 0
		.amdhsa_exception_fp_ieee_div_zero 0
		.amdhsa_exception_fp_ieee_overflow 0
		.amdhsa_exception_fp_ieee_underflow 0
		.amdhsa_exception_fp_ieee_inexact 0
		.amdhsa_exception_int_div_zero 0
	.end_amdhsa_kernel
	.section	.text._Z25scatter_to_striped_kernelIidLj165ELj5EEvPT_PT0_Pj,"axG",@progbits,_Z25scatter_to_striped_kernelIidLj165ELj5EEvPT_PT0_Pj,comdat
.Lfunc_end99:
	.size	_Z25scatter_to_striped_kernelIidLj165ELj5EEvPT_PT0_Pj, .Lfunc_end99-_Z25scatter_to_striped_kernelIidLj165ELj5EEvPT_PT0_Pj
                                        ; -- End function
	.section	.AMDGPU.csdata,"",@progbits
; Kernel info:
; codeLenInByte = 312
; NumSgprs: 16
; NumVgprs: 12
; ScratchSize: 0
; MemoryBound: 0
; FloatMode: 240
; IeeeMode: 1
; LDSByteSize: 672 bytes/workgroup (compile time only)
; SGPRBlocks: 1
; VGPRBlocks: 1
; NumSGPRsForWavesPerEU: 16
; NumVGPRsForWavesPerEU: 12
; Occupancy: 16
; WaveLimiterHint : 0
; COMPUTE_PGM_RSRC2:SCRATCH_EN: 0
; COMPUTE_PGM_RSRC2:USER_SGPR: 15
; COMPUTE_PGM_RSRC2:TRAP_HANDLER: 0
; COMPUTE_PGM_RSRC2:TGID_X_EN: 1
; COMPUTE_PGM_RSRC2:TGID_Y_EN: 0
; COMPUTE_PGM_RSRC2:TGID_Z_EN: 0
; COMPUTE_PGM_RSRC2:TIDIG_COMP_CNT: 0
	.section	.text._Z25scatter_to_striped_kernelIyyLj192ELj3EEvPT_PT0_Pj,"axG",@progbits,_Z25scatter_to_striped_kernelIyyLj192ELj3EEvPT_PT0_Pj,comdat
	.protected	_Z25scatter_to_striped_kernelIyyLj192ELj3EEvPT_PT0_Pj ; -- Begin function _Z25scatter_to_striped_kernelIyyLj192ELj3EEvPT_PT0_Pj
	.globl	_Z25scatter_to_striped_kernelIyyLj192ELj3EEvPT_PT0_Pj
	.p2align	8
	.type	_Z25scatter_to_striped_kernelIyyLj192ELj3EEvPT_PT0_Pj,@function
_Z25scatter_to_striped_kernelIyyLj192ELj3EEvPT_PT0_Pj: ; @_Z25scatter_to_striped_kernelIyyLj192ELj3EEvPT_PT0_Pj
; %bb.0:
	s_clause 0x1
	s_load_b128 s[4:7], s[0:1], 0x0
	s_load_b64 s[0:1], s[0:1], 0x10
	v_mul_u32_u24_e32 v1, 3, v0
	s_mov_b32 s3, 0
	s_mul_i32 s2, s15, 0xc0
	v_lshlrev_b32_e32 v11, 3, v0
	s_lshl_b64 s[8:9], s[2:3], 3
	v_lshlrev_b32_e32 v2, 2, v1
	v_lshlrev_b32_e32 v10, 3, v1
	s_waitcnt lgkmcnt(0)
	s_add_u32 s4, s4, s8
	s_addc_u32 s5, s5, s9
	s_lshl_b64 s[2:3], s[2:3], 2
	s_delay_alu instid0(SALU_CYCLE_1)
	s_add_u32 s0, s0, s2
	s_addc_u32 s1, s1, s3
	global_load_b96 v[5:7], v2, s[0:1]
	s_clause 0x1
	global_load_b128 v[1:4], v10, s[4:5]
	global_load_b64 v[8:9], v10, s[4:5] offset:16
	s_add_u32 s0, s6, s8
	s_addc_u32 s1, s7, s9
	s_waitcnt vmcnt(2)
	v_lshlrev_b32_e32 v5, 3, v5
	v_lshlrev_b32_e32 v6, 3, v6
	;; [unrolled: 1-line block ×3, first 2 shown]
	s_waitcnt vmcnt(1)
	ds_store_b64 v5, v[1:2]
	ds_store_b64 v6, v[3:4]
	s_waitcnt vmcnt(0)
	ds_store_b64 v7, v[8:9]
	s_waitcnt lgkmcnt(0)
	s_barrier
	buffer_gl0_inv
	ds_load_2addr_stride64_b64 v[0:3], v11 offset1:1
	ds_load_b64 v[4:5], v11 offset:1024
	s_waitcnt lgkmcnt(1)
	global_store_b128 v10, v[0:3], s[0:1]
	s_waitcnt lgkmcnt(0)
	global_store_b64 v10, v[4:5], s[0:1] offset:16
	s_nop 0
	s_sendmsg sendmsg(MSG_DEALLOC_VGPRS)
	s_endpgm
	.section	.rodata,"a",@progbits
	.p2align	6, 0x0
	.amdhsa_kernel _Z25scatter_to_striped_kernelIyyLj192ELj3EEvPT_PT0_Pj
		.amdhsa_group_segment_fixed_size 1536
		.amdhsa_private_segment_fixed_size 0
		.amdhsa_kernarg_size 24
		.amdhsa_user_sgpr_count 15
		.amdhsa_user_sgpr_dispatch_ptr 0
		.amdhsa_user_sgpr_queue_ptr 0
		.amdhsa_user_sgpr_kernarg_segment_ptr 1
		.amdhsa_user_sgpr_dispatch_id 0
		.amdhsa_user_sgpr_private_segment_size 0
		.amdhsa_wavefront_size32 1
		.amdhsa_uses_dynamic_stack 0
		.amdhsa_enable_private_segment 0
		.amdhsa_system_sgpr_workgroup_id_x 1
		.amdhsa_system_sgpr_workgroup_id_y 0
		.amdhsa_system_sgpr_workgroup_id_z 0
		.amdhsa_system_sgpr_workgroup_info 0
		.amdhsa_system_vgpr_workitem_id 0
		.amdhsa_next_free_vgpr 12
		.amdhsa_next_free_sgpr 16
		.amdhsa_reserve_vcc 0
		.amdhsa_float_round_mode_32 0
		.amdhsa_float_round_mode_16_64 0
		.amdhsa_float_denorm_mode_32 3
		.amdhsa_float_denorm_mode_16_64 3
		.amdhsa_dx10_clamp 1
		.amdhsa_ieee_mode 1
		.amdhsa_fp16_overflow 0
		.amdhsa_workgroup_processor_mode 1
		.amdhsa_memory_ordered 1
		.amdhsa_forward_progress 0
		.amdhsa_shared_vgpr_count 0
		.amdhsa_exception_fp_ieee_invalid_op 0
		.amdhsa_exception_fp_denorm_src 0
		.amdhsa_exception_fp_ieee_div_zero 0
		.amdhsa_exception_fp_ieee_overflow 0
		.amdhsa_exception_fp_ieee_underflow 0
		.amdhsa_exception_fp_ieee_inexact 0
		.amdhsa_exception_int_div_zero 0
	.end_amdhsa_kernel
	.section	.text._Z25scatter_to_striped_kernelIyyLj192ELj3EEvPT_PT0_Pj,"axG",@progbits,_Z25scatter_to_striped_kernelIyyLj192ELj3EEvPT_PT0_Pj,comdat
.Lfunc_end100:
	.size	_Z25scatter_to_striped_kernelIyyLj192ELj3EEvPT_PT0_Pj, .Lfunc_end100-_Z25scatter_to_striped_kernelIyyLj192ELj3EEvPT_PT0_Pj
                                        ; -- End function
	.section	.AMDGPU.csdata,"",@progbits
; Kernel info:
; codeLenInByte = 232
; NumSgprs: 16
; NumVgprs: 12
; ScratchSize: 0
; MemoryBound: 1
; FloatMode: 240
; IeeeMode: 1
; LDSByteSize: 1536 bytes/workgroup (compile time only)
; SGPRBlocks: 1
; VGPRBlocks: 1
; NumSGPRsForWavesPerEU: 16
; NumVGPRsForWavesPerEU: 12
; Occupancy: 16
; WaveLimiterHint : 1
; COMPUTE_PGM_RSRC2:SCRATCH_EN: 0
; COMPUTE_PGM_RSRC2:USER_SGPR: 15
; COMPUTE_PGM_RSRC2:TRAP_HANDLER: 0
; COMPUTE_PGM_RSRC2:TGID_X_EN: 1
; COMPUTE_PGM_RSRC2:TGID_Y_EN: 0
; COMPUTE_PGM_RSRC2:TGID_Z_EN: 0
; COMPUTE_PGM_RSRC2:TIDIG_COMP_CNT: 0
	.section	.text._Z25scatter_to_striped_kernelIiiLj384ELj3EEvPT_PT0_Pj,"axG",@progbits,_Z25scatter_to_striped_kernelIiiLj384ELj3EEvPT_PT0_Pj,comdat
	.protected	_Z25scatter_to_striped_kernelIiiLj384ELj3EEvPT_PT0_Pj ; -- Begin function _Z25scatter_to_striped_kernelIiiLj384ELj3EEvPT_PT0_Pj
	.globl	_Z25scatter_to_striped_kernelIiiLj384ELj3EEvPT_PT0_Pj
	.p2align	8
	.type	_Z25scatter_to_striped_kernelIiiLj384ELj3EEvPT_PT0_Pj,@function
_Z25scatter_to_striped_kernelIiiLj384ELj3EEvPT_PT0_Pj: ; @_Z25scatter_to_striped_kernelIiiLj384ELj3EEvPT_PT0_Pj
; %bb.0:
	s_clause 0x1
	s_load_b128 s[4:7], s[0:1], 0x0
	s_load_b64 s[0:1], s[0:1], 0x10
	v_mul_u32_u24_e32 v1, 3, v0
	s_mov_b32 s3, 0
	s_mul_i32 s2, s15, 0x180
	v_lshlrev_b32_e32 v8, 2, v0
	s_lshl_b64 s[2:3], s[2:3], 2
	v_lshlrev_b32_e32 v7, 2, v1
	s_waitcnt lgkmcnt(0)
	s_add_u32 s4, s4, s2
	s_addc_u32 s5, s5, s3
	s_add_u32 s0, s0, s2
	s_addc_u32 s1, s1, s3
	s_clause 0x1
	global_load_b96 v[1:3], v7, s[0:1]
	global_load_b96 v[4:6], v7, s[4:5]
	s_add_u32 s0, s6, s2
	s_addc_u32 s1, s7, s3
	s_waitcnt vmcnt(1)
	v_lshlrev_b32_e32 v1, 2, v1
	v_lshlrev_b32_e32 v2, 2, v2
	;; [unrolled: 1-line block ×3, first 2 shown]
	s_waitcnt vmcnt(0)
	ds_store_b32 v1, v4
	ds_store_b32 v2, v5
	;; [unrolled: 1-line block ×3, first 2 shown]
	s_waitcnt lgkmcnt(0)
	s_barrier
	buffer_gl0_inv
	ds_load_2addr_stride64_b32 v[0:1], v8 offset1:2
	ds_load_b32 v2, v8 offset:1024
	s_waitcnt lgkmcnt(0)
	global_store_b96 v7, v[0:2], s[0:1]
	s_nop 0
	s_sendmsg sendmsg(MSG_DEALLOC_VGPRS)
	s_endpgm
	.section	.rodata,"a",@progbits
	.p2align	6, 0x0
	.amdhsa_kernel _Z25scatter_to_striped_kernelIiiLj384ELj3EEvPT_PT0_Pj
		.amdhsa_group_segment_fixed_size 1536
		.amdhsa_private_segment_fixed_size 0
		.amdhsa_kernarg_size 24
		.amdhsa_user_sgpr_count 15
		.amdhsa_user_sgpr_dispatch_ptr 0
		.amdhsa_user_sgpr_queue_ptr 0
		.amdhsa_user_sgpr_kernarg_segment_ptr 1
		.amdhsa_user_sgpr_dispatch_id 0
		.amdhsa_user_sgpr_private_segment_size 0
		.amdhsa_wavefront_size32 1
		.amdhsa_uses_dynamic_stack 0
		.amdhsa_enable_private_segment 0
		.amdhsa_system_sgpr_workgroup_id_x 1
		.amdhsa_system_sgpr_workgroup_id_y 0
		.amdhsa_system_sgpr_workgroup_id_z 0
		.amdhsa_system_sgpr_workgroup_info 0
		.amdhsa_system_vgpr_workitem_id 0
		.amdhsa_next_free_vgpr 9
		.amdhsa_next_free_sgpr 16
		.amdhsa_reserve_vcc 0
		.amdhsa_float_round_mode_32 0
		.amdhsa_float_round_mode_16_64 0
		.amdhsa_float_denorm_mode_32 3
		.amdhsa_float_denorm_mode_16_64 3
		.amdhsa_dx10_clamp 1
		.amdhsa_ieee_mode 1
		.amdhsa_fp16_overflow 0
		.amdhsa_workgroup_processor_mode 1
		.amdhsa_memory_ordered 1
		.amdhsa_forward_progress 0
		.amdhsa_shared_vgpr_count 0
		.amdhsa_exception_fp_ieee_invalid_op 0
		.amdhsa_exception_fp_denorm_src 0
		.amdhsa_exception_fp_ieee_div_zero 0
		.amdhsa_exception_fp_ieee_overflow 0
		.amdhsa_exception_fp_ieee_underflow 0
		.amdhsa_exception_fp_ieee_inexact 0
		.amdhsa_exception_int_div_zero 0
	.end_amdhsa_kernel
	.section	.text._Z25scatter_to_striped_kernelIiiLj384ELj3EEvPT_PT0_Pj,"axG",@progbits,_Z25scatter_to_striped_kernelIiiLj384ELj3EEvPT_PT0_Pj,comdat
.Lfunc_end101:
	.size	_Z25scatter_to_striped_kernelIiiLj384ELj3EEvPT_PT0_Pj, .Lfunc_end101-_Z25scatter_to_striped_kernelIiiLj384ELj3EEvPT_PT0_Pj
                                        ; -- End function
	.section	.AMDGPU.csdata,"",@progbits
; Kernel info:
; codeLenInByte = 196
; NumSgprs: 16
; NumVgprs: 9
; ScratchSize: 0
; MemoryBound: 0
; FloatMode: 240
; IeeeMode: 1
; LDSByteSize: 1536 bytes/workgroup (compile time only)
; SGPRBlocks: 1
; VGPRBlocks: 1
; NumSGPRsForWavesPerEU: 16
; NumVGPRsForWavesPerEU: 9
; Occupancy: 16
; WaveLimiterHint : 0
; COMPUTE_PGM_RSRC2:SCRATCH_EN: 0
; COMPUTE_PGM_RSRC2:USER_SGPR: 15
; COMPUTE_PGM_RSRC2:TRAP_HANDLER: 0
; COMPUTE_PGM_RSRC2:TGID_X_EN: 1
; COMPUTE_PGM_RSRC2:TGID_Y_EN: 0
; COMPUTE_PGM_RSRC2:TGID_Z_EN: 0
; COMPUTE_PGM_RSRC2:TIDIG_COMP_CNT: 0
	.section	.text._Z25scatter_to_striped_kernelIs5dummyIfELj896ELj7EEvPT_PT0_Pj,"axG",@progbits,_Z25scatter_to_striped_kernelIs5dummyIfELj896ELj7EEvPT_PT0_Pj,comdat
	.protected	_Z25scatter_to_striped_kernelIs5dummyIfELj896ELj7EEvPT_PT0_Pj ; -- Begin function _Z25scatter_to_striped_kernelIs5dummyIfELj896ELj7EEvPT_PT0_Pj
	.globl	_Z25scatter_to_striped_kernelIs5dummyIfELj896ELj7EEvPT_PT0_Pj
	.p2align	8
	.type	_Z25scatter_to_striped_kernelIs5dummyIfELj896ELj7EEvPT_PT0_Pj,@function
_Z25scatter_to_striped_kernelIs5dummyIfELj896ELj7EEvPT_PT0_Pj: ; @_Z25scatter_to_striped_kernelIs5dummyIfELj896ELj7EEvPT_PT0_Pj
; %bb.0:
	s_clause 0x1
	s_load_b128 s[4:7], s[0:1], 0x0
	s_load_b64 s[0:1], s[0:1], 0x10
	v_mul_u32_u24_e32 v11, 7, v0
	s_mov_b32 s3, 0
	s_mul_i32 s2, s15, 0x380
	v_lshlrev_b32_e32 v0, 1, v0
	s_lshl_b64 s[8:9], s[2:3], 1
	v_lshlrev_b32_e32 v5, 2, v11
	v_lshlrev_b32_e32 v12, 1, v11
	;; [unrolled: 1-line block ×3, first 2 shown]
	s_waitcnt lgkmcnt(0)
	s_add_u32 s4, s4, s8
	s_addc_u32 s5, s5, s9
	s_lshl_b64 s[8:9], s[2:3], 2
	s_delay_alu instid0(SALU_CYCLE_1)
	s_add_u32 s0, s0, s8
	s_addc_u32 s1, s1, s9
	s_clause 0x1
	global_load_b128 v[1:4], v5, s[0:1]
	global_load_b96 v[5:7], v5, s[0:1] offset:16
	s_clause 0x1
	global_load_b96 v[8:10], v12, s[4:5]
	global_load_u16 v12, v12, s[4:5] offset:12
	s_lshl_b64 s[0:1], s[2:3], 3
	s_delay_alu instid0(SALU_CYCLE_1)
	s_add_u32 s0, s6, s0
	s_addc_u32 s1, s7, s1
	s_waitcnt vmcnt(2)
	v_lshlrev_b32_e32 v5, 1, v5
	v_lshlrev_b32_e32 v1, 1, v1
	;; [unrolled: 1-line block ×7, first 2 shown]
	s_waitcnt vmcnt(1)
	ds_store_b16 v1, v8
	ds_store_b16_d16_hi v2, v8
	ds_store_b16 v3, v9
	ds_store_b16_d16_hi v4, v9
	;; [unrolled: 2-line block ×3, first 2 shown]
	s_waitcnt vmcnt(0)
	ds_store_b16 v7, v12
	s_waitcnt lgkmcnt(0)
	s_barrier
	buffer_gl0_inv
	ds_load_i16 v1, v0
	ds_load_i16 v2, v0 offset:256
	ds_load_i16 v3, v0 offset:512
	;; [unrolled: 1-line block ×6, first 2 shown]
	s_waitcnt lgkmcnt(6)
	v_add_nc_u32_e32 v7, 1, v1
	v_lshlrev_b32_e32 v1, 1, v1
	s_waitcnt lgkmcnt(5)
	v_add_nc_u32_e32 v8, 1, v2
	v_lshlrev_b32_e32 v9, 1, v2
	s_waitcnt lgkmcnt(4)
	v_add_nc_u32_e32 v10, 1, v3
	v_lshlrev_b32_e32 v11, 1, v3
	s_waitcnt lgkmcnt(3)
	v_add_nc_u32_e32 v12, 1, v4
	v_lshlrev_b32_e32 v13, 1, v4
	s_waitcnt lgkmcnt(2)
	v_add_nc_u32_e32 v15, 1, v5
	v_lshlrev_b32_e32 v16, 1, v5
	s_waitcnt lgkmcnt(1)
	v_add_nc_u32_e32 v17, 1, v6
	v_lshlrev_b32_e32 v18, 1, v6
	s_waitcnt lgkmcnt(0)
	v_add_nc_u32_e32 v19, 1, v0
	v_lshlrev_b32_e32 v20, 1, v0
	v_cvt_f32_i32_e32 v0, v7
	v_cvt_f32_i32_e32 v1, v1
	;; [unrolled: 1-line block ×14, first 2 shown]
	s_clause 0x3
	global_store_b128 v14, v[0:3], s[0:1]
	global_store_b128 v14, v[4:7], s[0:1] offset:16
	global_store_b128 v14, v[8:11], s[0:1] offset:32
	global_store_b64 v14, v[12:13], s[0:1] offset:48
	s_nop 0
	s_sendmsg sendmsg(MSG_DEALLOC_VGPRS)
	s_endpgm
	.section	.rodata,"a",@progbits
	.p2align	6, 0x0
	.amdhsa_kernel _Z25scatter_to_striped_kernelIs5dummyIfELj896ELj7EEvPT_PT0_Pj
		.amdhsa_group_segment_fixed_size 1792
		.amdhsa_private_segment_fixed_size 0
		.amdhsa_kernarg_size 24
		.amdhsa_user_sgpr_count 15
		.amdhsa_user_sgpr_dispatch_ptr 0
		.amdhsa_user_sgpr_queue_ptr 0
		.amdhsa_user_sgpr_kernarg_segment_ptr 1
		.amdhsa_user_sgpr_dispatch_id 0
		.amdhsa_user_sgpr_private_segment_size 0
		.amdhsa_wavefront_size32 1
		.amdhsa_uses_dynamic_stack 0
		.amdhsa_enable_private_segment 0
		.amdhsa_system_sgpr_workgroup_id_x 1
		.amdhsa_system_sgpr_workgroup_id_y 0
		.amdhsa_system_sgpr_workgroup_id_z 0
		.amdhsa_system_sgpr_workgroup_info 0
		.amdhsa_system_vgpr_workitem_id 0
		.amdhsa_next_free_vgpr 21
		.amdhsa_next_free_sgpr 16
		.amdhsa_reserve_vcc 0
		.amdhsa_float_round_mode_32 0
		.amdhsa_float_round_mode_16_64 0
		.amdhsa_float_denorm_mode_32 3
		.amdhsa_float_denorm_mode_16_64 3
		.amdhsa_dx10_clamp 1
		.amdhsa_ieee_mode 1
		.amdhsa_fp16_overflow 0
		.amdhsa_workgroup_processor_mode 1
		.amdhsa_memory_ordered 1
		.amdhsa_forward_progress 0
		.amdhsa_shared_vgpr_count 0
		.amdhsa_exception_fp_ieee_invalid_op 0
		.amdhsa_exception_fp_denorm_src 0
		.amdhsa_exception_fp_ieee_div_zero 0
		.amdhsa_exception_fp_ieee_overflow 0
		.amdhsa_exception_fp_ieee_underflow 0
		.amdhsa_exception_fp_ieee_inexact 0
		.amdhsa_exception_int_div_zero 0
	.end_amdhsa_kernel
	.section	.text._Z25scatter_to_striped_kernelIs5dummyIfELj896ELj7EEvPT_PT0_Pj,"axG",@progbits,_Z25scatter_to_striped_kernelIs5dummyIfELj896ELj7EEvPT_PT0_Pj,comdat
.Lfunc_end102:
	.size	_Z25scatter_to_striped_kernelIs5dummyIfELj896ELj7EEvPT_PT0_Pj, .Lfunc_end102-_Z25scatter_to_striped_kernelIs5dummyIfELj896ELj7EEvPT_PT0_Pj
                                        ; -- End function
	.section	.AMDGPU.csdata,"",@progbits
; Kernel info:
; codeLenInByte = 496
; NumSgprs: 16
; NumVgprs: 21
; ScratchSize: 0
; MemoryBound: 0
; FloatMode: 240
; IeeeMode: 1
; LDSByteSize: 1792 bytes/workgroup (compile time only)
; SGPRBlocks: 1
; VGPRBlocks: 2
; NumSGPRsForWavesPerEU: 16
; NumVGPRsForWavesPerEU: 21
; Occupancy: 16
; WaveLimiterHint : 0
; COMPUTE_PGM_RSRC2:SCRATCH_EN: 0
; COMPUTE_PGM_RSRC2:USER_SGPR: 15
; COMPUTE_PGM_RSRC2:TRAP_HANDLER: 0
; COMPUTE_PGM_RSRC2:TGID_X_EN: 1
; COMPUTE_PGM_RSRC2:TGID_Y_EN: 0
; COMPUTE_PGM_RSRC2:TGID_Z_EN: 0
; COMPUTE_PGM_RSRC2:TIDIG_COMP_CNT: 0
	.section	.text._Z25scatter_to_striped_kernelIiiLj2560ELj5EEvPT_PT0_Pj,"axG",@progbits,_Z25scatter_to_striped_kernelIiiLj2560ELj5EEvPT_PT0_Pj,comdat
	.protected	_Z25scatter_to_striped_kernelIiiLj2560ELj5EEvPT_PT0_Pj ; -- Begin function _Z25scatter_to_striped_kernelIiiLj2560ELj5EEvPT_PT0_Pj
	.globl	_Z25scatter_to_striped_kernelIiiLj2560ELj5EEvPT_PT0_Pj
	.p2align	8
	.type	_Z25scatter_to_striped_kernelIiiLj2560ELj5EEvPT_PT0_Pj,@function
_Z25scatter_to_striped_kernelIiiLj2560ELj5EEvPT_PT0_Pj: ; @_Z25scatter_to_striped_kernelIiiLj2560ELj5EEvPT_PT0_Pj
; %bb.0:
	s_clause 0x1
	s_load_b128 s[4:7], s[0:1], 0x0
	s_load_b64 s[0:1], s[0:1], 0x10
	v_mul_u32_u24_e32 v1, 5, v0
	s_mov_b32 s3, 0
	s_mul_i32 s2, s15, 0xa00
	v_lshlrev_b32_e32 v12, 2, v0
	s_lshl_b64 s[2:3], s[2:3], 2
	v_lshlrev_b32_e32 v9, 2, v1
	s_waitcnt lgkmcnt(0)
	s_add_u32 s4, s4, s2
	s_addc_u32 s5, s5, s3
	s_add_u32 s0, s0, s2
	s_addc_u32 s1, s1, s3
	s_clause 0x3
	global_load_b128 v[1:4], v9, s[0:1]
	global_load_b32 v10, v9, s[0:1] offset:16
	global_load_b128 v[5:8], v9, s[4:5]
	global_load_b32 v11, v9, s[4:5] offset:16
	s_add_u32 s0, s6, s2
	s_addc_u32 s1, s7, s3
	s_waitcnt vmcnt(3)
	v_lshlrev_b32_e32 v0, 2, v1
	v_lshlrev_b32_e32 v1, 2, v2
	;; [unrolled: 1-line block ×4, first 2 shown]
	s_waitcnt vmcnt(2)
	v_lshlrev_b32_e32 v4, 2, v10
	s_waitcnt vmcnt(1)
	ds_store_b32 v0, v5
	ds_store_b32 v1, v6
	;; [unrolled: 1-line block ×4, first 2 shown]
	s_waitcnt vmcnt(0)
	ds_store_b32 v4, v11
	s_waitcnt lgkmcnt(0)
	s_barrier
	buffer_gl0_inv
	ds_load_2addr_stride64_b32 v[0:1], v12 offset1:8
	ds_load_2addr_stride64_b32 v[2:3], v12 offset0:16 offset1:24
	ds_load_b32 v4, v12 offset:8192
	s_waitcnt lgkmcnt(1)
	global_store_b128 v9, v[0:3], s[0:1]
	s_waitcnt lgkmcnt(0)
	global_store_b32 v9, v4, s[0:1] offset:16
	s_nop 0
	s_sendmsg sendmsg(MSG_DEALLOC_VGPRS)
	s_endpgm
	.section	.rodata,"a",@progbits
	.p2align	6, 0x0
	.amdhsa_kernel _Z25scatter_to_striped_kernelIiiLj2560ELj5EEvPT_PT0_Pj
		.amdhsa_group_segment_fixed_size 10240
		.amdhsa_private_segment_fixed_size 0
		.amdhsa_kernarg_size 24
		.amdhsa_user_sgpr_count 15
		.amdhsa_user_sgpr_dispatch_ptr 0
		.amdhsa_user_sgpr_queue_ptr 0
		.amdhsa_user_sgpr_kernarg_segment_ptr 1
		.amdhsa_user_sgpr_dispatch_id 0
		.amdhsa_user_sgpr_private_segment_size 0
		.amdhsa_wavefront_size32 1
		.amdhsa_uses_dynamic_stack 0
		.amdhsa_enable_private_segment 0
		.amdhsa_system_sgpr_workgroup_id_x 1
		.amdhsa_system_sgpr_workgroup_id_y 0
		.amdhsa_system_sgpr_workgroup_id_z 0
		.amdhsa_system_sgpr_workgroup_info 0
		.amdhsa_system_vgpr_workitem_id 0
		.amdhsa_next_free_vgpr 13
		.amdhsa_next_free_sgpr 16
		.amdhsa_reserve_vcc 0
		.amdhsa_float_round_mode_32 0
		.amdhsa_float_round_mode_16_64 0
		.amdhsa_float_denorm_mode_32 3
		.amdhsa_float_denorm_mode_16_64 3
		.amdhsa_dx10_clamp 1
		.amdhsa_ieee_mode 1
		.amdhsa_fp16_overflow 0
		.amdhsa_workgroup_processor_mode 1
		.amdhsa_memory_ordered 1
		.amdhsa_forward_progress 0
		.amdhsa_shared_vgpr_count 0
		.amdhsa_exception_fp_ieee_invalid_op 0
		.amdhsa_exception_fp_denorm_src 0
		.amdhsa_exception_fp_ieee_div_zero 0
		.amdhsa_exception_fp_ieee_overflow 0
		.amdhsa_exception_fp_ieee_underflow 0
		.amdhsa_exception_fp_ieee_inexact 0
		.amdhsa_exception_int_div_zero 0
	.end_amdhsa_kernel
	.section	.text._Z25scatter_to_striped_kernelIiiLj2560ELj5EEvPT_PT0_Pj,"axG",@progbits,_Z25scatter_to_striped_kernelIiiLj2560ELj5EEvPT_PT0_Pj,comdat
.Lfunc_end103:
	.size	_Z25scatter_to_striped_kernelIiiLj2560ELj5EEvPT_PT0_Pj, .Lfunc_end103-_Z25scatter_to_striped_kernelIiiLj2560ELj5EEvPT_PT0_Pj
                                        ; -- End function
	.section	.AMDGPU.csdata,"",@progbits
; Kernel info:
; codeLenInByte = 264
; NumSgprs: 16
; NumVgprs: 13
; ScratchSize: 0
; MemoryBound: 0
; FloatMode: 240
; IeeeMode: 1
; LDSByteSize: 10240 bytes/workgroup (compile time only)
; SGPRBlocks: 1
; VGPRBlocks: 1
; NumSGPRsForWavesPerEU: 16
; NumVGPRsForWavesPerEU: 13
; Occupancy: 16
; WaveLimiterHint : 0
; COMPUTE_PGM_RSRC2:SCRATCH_EN: 0
; COMPUTE_PGM_RSRC2:USER_SGPR: 15
; COMPUTE_PGM_RSRC2:TRAP_HANDLER: 0
; COMPUTE_PGM_RSRC2:TGID_X_EN: 1
; COMPUTE_PGM_RSRC2:TGID_Y_EN: 0
; COMPUTE_PGM_RSRC2:TGID_Z_EN: 0
; COMPUTE_PGM_RSRC2:TIDIG_COMP_CNT: 0
	.section	.text._Z25scatter_to_striped_kernelIxxLj1024ELj4EEvPT_PT0_Pj,"axG",@progbits,_Z25scatter_to_striped_kernelIxxLj1024ELj4EEvPT_PT0_Pj,comdat
	.protected	_Z25scatter_to_striped_kernelIxxLj1024ELj4EEvPT_PT0_Pj ; -- Begin function _Z25scatter_to_striped_kernelIxxLj1024ELj4EEvPT_PT0_Pj
	.globl	_Z25scatter_to_striped_kernelIxxLj1024ELj4EEvPT_PT0_Pj
	.p2align	8
	.type	_Z25scatter_to_striped_kernelIxxLj1024ELj4EEvPT_PT0_Pj,@function
_Z25scatter_to_striped_kernelIxxLj1024ELj4EEvPT_PT0_Pj: ; @_Z25scatter_to_striped_kernelIxxLj1024ELj4EEvPT_PT0_Pj
; %bb.0:
	s_clause 0x1
	s_load_b128 s[4:7], s[0:1], 0x0
	s_load_b64 s[0:1], s[0:1], 0x10
	s_mov_b32 s3, 0
	s_lshl_b32 s2, s15, 10
	v_lshlrev_b32_e32 v1, 4, v0
	s_lshl_b64 s[8:9], s[2:3], 3
	v_lshlrev_b32_e32 v13, 5, v0
	v_lshlrev_b32_e32 v14, 3, v0
	s_waitcnt lgkmcnt(0)
	s_add_u32 s4, s4, s8
	s_addc_u32 s5, s5, s9
	s_lshl_b64 s[2:3], s[2:3], 2
	s_delay_alu instid0(SALU_CYCLE_1)
	s_add_u32 s0, s0, s2
	s_addc_u32 s1, s1, s3
	global_load_b128 v[1:4], v1, s[0:1]
	s_clause 0x1
	global_load_b128 v[5:8], v13, s[4:5]
	global_load_b128 v[9:12], v13, s[4:5] offset:16
	s_add_u32 s0, s6, s8
	s_addc_u32 s1, s7, s9
	s_waitcnt vmcnt(2)
	v_lshlrev_b32_e32 v1, 3, v1
	v_lshlrev_b32_e32 v2, 3, v2
	;; [unrolled: 1-line block ×4, first 2 shown]
	s_waitcnt vmcnt(1)
	ds_store_b64 v1, v[5:6]
	ds_store_b64 v2, v[7:8]
	s_waitcnt vmcnt(0)
	ds_store_b64 v3, v[9:10]
	ds_store_b64 v4, v[11:12]
	s_waitcnt lgkmcnt(0)
	s_barrier
	buffer_gl0_inv
	ds_load_2addr_stride64_b64 v[0:3], v14 offset1:4
	ds_load_2addr_stride64_b64 v[4:7], v14 offset0:8 offset1:12
	s_waitcnt lgkmcnt(1)
	global_store_b128 v13, v[0:3], s[0:1]
	s_waitcnt lgkmcnt(0)
	global_store_b128 v13, v[4:7], s[0:1] offset:16
	s_nop 0
	s_sendmsg sendmsg(MSG_DEALLOC_VGPRS)
	s_endpgm
	.section	.rodata,"a",@progbits
	.p2align	6, 0x0
	.amdhsa_kernel _Z25scatter_to_striped_kernelIxxLj1024ELj4EEvPT_PT0_Pj
		.amdhsa_group_segment_fixed_size 8448
		.amdhsa_private_segment_fixed_size 0
		.amdhsa_kernarg_size 24
		.amdhsa_user_sgpr_count 15
		.amdhsa_user_sgpr_dispatch_ptr 0
		.amdhsa_user_sgpr_queue_ptr 0
		.amdhsa_user_sgpr_kernarg_segment_ptr 1
		.amdhsa_user_sgpr_dispatch_id 0
		.amdhsa_user_sgpr_private_segment_size 0
		.amdhsa_wavefront_size32 1
		.amdhsa_uses_dynamic_stack 0
		.amdhsa_enable_private_segment 0
		.amdhsa_system_sgpr_workgroup_id_x 1
		.amdhsa_system_sgpr_workgroup_id_y 0
		.amdhsa_system_sgpr_workgroup_id_z 0
		.amdhsa_system_sgpr_workgroup_info 0
		.amdhsa_system_vgpr_workitem_id 0
		.amdhsa_next_free_vgpr 15
		.amdhsa_next_free_sgpr 16
		.amdhsa_reserve_vcc 0
		.amdhsa_float_round_mode_32 0
		.amdhsa_float_round_mode_16_64 0
		.amdhsa_float_denorm_mode_32 3
		.amdhsa_float_denorm_mode_16_64 3
		.amdhsa_dx10_clamp 1
		.amdhsa_ieee_mode 1
		.amdhsa_fp16_overflow 0
		.amdhsa_workgroup_processor_mode 1
		.amdhsa_memory_ordered 1
		.amdhsa_forward_progress 0
		.amdhsa_shared_vgpr_count 0
		.amdhsa_exception_fp_ieee_invalid_op 0
		.amdhsa_exception_fp_denorm_src 0
		.amdhsa_exception_fp_ieee_div_zero 0
		.amdhsa_exception_fp_ieee_overflow 0
		.amdhsa_exception_fp_ieee_underflow 0
		.amdhsa_exception_fp_ieee_inexact 0
		.amdhsa_exception_int_div_zero 0
	.end_amdhsa_kernel
	.section	.text._Z25scatter_to_striped_kernelIxxLj1024ELj4EEvPT_PT0_Pj,"axG",@progbits,_Z25scatter_to_striped_kernelIxxLj1024ELj4EEvPT_PT0_Pj,comdat
.Lfunc_end104:
	.size	_Z25scatter_to_striped_kernelIxxLj1024ELj4EEvPT_PT0_Pj, .Lfunc_end104-_Z25scatter_to_striped_kernelIxxLj1024ELj4EEvPT_PT0_Pj
                                        ; -- End function
	.section	.AMDGPU.csdata,"",@progbits
; Kernel info:
; codeLenInByte = 236
; NumSgprs: 16
; NumVgprs: 15
; ScratchSize: 0
; MemoryBound: 1
; FloatMode: 240
; IeeeMode: 1
; LDSByteSize: 8448 bytes/workgroup (compile time only)
; SGPRBlocks: 1
; VGPRBlocks: 1
; NumSGPRsForWavesPerEU: 16
; NumVGPRsForWavesPerEU: 15
; Occupancy: 16
; WaveLimiterHint : 1
; COMPUTE_PGM_RSRC2:SCRATCH_EN: 0
; COMPUTE_PGM_RSRC2:USER_SGPR: 15
; COMPUTE_PGM_RSRC2:TRAP_HANDLER: 0
; COMPUTE_PGM_RSRC2:TGID_X_EN: 1
; COMPUTE_PGM_RSRC2:TGID_Y_EN: 0
; COMPUTE_PGM_RSRC2:TGID_Z_EN: 0
; COMPUTE_PGM_RSRC2:TIDIG_COMP_CNT: 0
	.section	.text._Z25scatter_to_striped_kernelIiiLj128ELj2EEvPT_PT0_Pj,"axG",@progbits,_Z25scatter_to_striped_kernelIiiLj128ELj2EEvPT_PT0_Pj,comdat
	.protected	_Z25scatter_to_striped_kernelIiiLj128ELj2EEvPT_PT0_Pj ; -- Begin function _Z25scatter_to_striped_kernelIiiLj128ELj2EEvPT_PT0_Pj
	.globl	_Z25scatter_to_striped_kernelIiiLj128ELj2EEvPT_PT0_Pj
	.p2align	8
	.type	_Z25scatter_to_striped_kernelIiiLj128ELj2EEvPT_PT0_Pj,@function
_Z25scatter_to_striped_kernelIiiLj128ELj2EEvPT_PT0_Pj: ; @_Z25scatter_to_striped_kernelIiiLj128ELj2EEvPT_PT0_Pj
; %bb.0:
	s_clause 0x1
	s_load_b128 s[4:7], s[0:1], 0x0
	s_load_b64 s[0:1], s[0:1], 0x10
	s_mov_b32 s3, 0
	s_lshl_b32 s2, s15, 7
	v_lshlrev_b32_e32 v5, 3, v0
	s_lshl_b64 s[2:3], s[2:3], 2
	v_lshlrev_b32_e32 v0, 2, v0
	s_waitcnt lgkmcnt(0)
	s_add_u32 s4, s4, s2
	s_addc_u32 s5, s5, s3
	s_add_u32 s0, s0, s2
	s_addc_u32 s1, s1, s3
	s_clause 0x1
	global_load_b64 v[1:2], v5, s[0:1]
	global_load_b64 v[3:4], v5, s[4:5]
	s_add_u32 s0, s6, s2
	s_addc_u32 s1, s7, s3
	s_waitcnt vmcnt(1)
	v_lshlrev_b32_e32 v1, 2, v1
	v_lshlrev_b32_e32 v2, 2, v2
	s_waitcnt vmcnt(0)
	ds_store_b32 v1, v3
	ds_store_b32 v2, v4
	s_waitcnt lgkmcnt(0)
	s_barrier
	buffer_gl0_inv
	ds_load_2addr_stride64_b32 v[0:1], v0 offset1:1
	s_waitcnt lgkmcnt(0)
	global_store_b64 v5, v[0:1], s[0:1]
	s_nop 0
	s_sendmsg sendmsg(MSG_DEALLOC_VGPRS)
	s_endpgm
	.section	.rodata,"a",@progbits
	.p2align	6, 0x0
	.amdhsa_kernel _Z25scatter_to_striped_kernelIiiLj128ELj2EEvPT_PT0_Pj
		.amdhsa_group_segment_fixed_size 528
		.amdhsa_private_segment_fixed_size 0
		.amdhsa_kernarg_size 24
		.amdhsa_user_sgpr_count 15
		.amdhsa_user_sgpr_dispatch_ptr 0
		.amdhsa_user_sgpr_queue_ptr 0
		.amdhsa_user_sgpr_kernarg_segment_ptr 1
		.amdhsa_user_sgpr_dispatch_id 0
		.amdhsa_user_sgpr_private_segment_size 0
		.amdhsa_wavefront_size32 1
		.amdhsa_uses_dynamic_stack 0
		.amdhsa_enable_private_segment 0
		.amdhsa_system_sgpr_workgroup_id_x 1
		.amdhsa_system_sgpr_workgroup_id_y 0
		.amdhsa_system_sgpr_workgroup_id_z 0
		.amdhsa_system_sgpr_workgroup_info 0
		.amdhsa_system_vgpr_workitem_id 0
		.amdhsa_next_free_vgpr 6
		.amdhsa_next_free_sgpr 16
		.amdhsa_reserve_vcc 0
		.amdhsa_float_round_mode_32 0
		.amdhsa_float_round_mode_16_64 0
		.amdhsa_float_denorm_mode_32 3
		.amdhsa_float_denorm_mode_16_64 3
		.amdhsa_dx10_clamp 1
		.amdhsa_ieee_mode 1
		.amdhsa_fp16_overflow 0
		.amdhsa_workgroup_processor_mode 1
		.amdhsa_memory_ordered 1
		.amdhsa_forward_progress 0
		.amdhsa_shared_vgpr_count 0
		.amdhsa_exception_fp_ieee_invalid_op 0
		.amdhsa_exception_fp_denorm_src 0
		.amdhsa_exception_fp_ieee_div_zero 0
		.amdhsa_exception_fp_ieee_overflow 0
		.amdhsa_exception_fp_ieee_underflow 0
		.amdhsa_exception_fp_ieee_inexact 0
		.amdhsa_exception_int_div_zero 0
	.end_amdhsa_kernel
	.section	.text._Z25scatter_to_striped_kernelIiiLj128ELj2EEvPT_PT0_Pj,"axG",@progbits,_Z25scatter_to_striped_kernelIiiLj128ELj2EEvPT_PT0_Pj,comdat
.Lfunc_end105:
	.size	_Z25scatter_to_striped_kernelIiiLj128ELj2EEvPT_PT0_Pj, .Lfunc_end105-_Z25scatter_to_striped_kernelIiiLj128ELj2EEvPT_PT0_Pj
                                        ; -- End function
	.section	.AMDGPU.csdata,"",@progbits
; Kernel info:
; codeLenInByte = 168
; NumSgprs: 16
; NumVgprs: 6
; ScratchSize: 0
; MemoryBound: 0
; FloatMode: 240
; IeeeMode: 1
; LDSByteSize: 528 bytes/workgroup (compile time only)
; SGPRBlocks: 1
; VGPRBlocks: 0
; NumSGPRsForWavesPerEU: 16
; NumVGPRsForWavesPerEU: 6
; Occupancy: 16
; WaveLimiterHint : 0
; COMPUTE_PGM_RSRC2:SCRATCH_EN: 0
; COMPUTE_PGM_RSRC2:USER_SGPR: 15
; COMPUTE_PGM_RSRC2:TRAP_HANDLER: 0
; COMPUTE_PGM_RSRC2:TGID_X_EN: 1
; COMPUTE_PGM_RSRC2:TGID_Y_EN: 0
; COMPUTE_PGM_RSRC2:TGID_Z_EN: 0
; COMPUTE_PGM_RSRC2:TIDIG_COMP_CNT: 0
	.section	.text._Z25scatter_to_striped_kernelIxxLj512ELj1EEvPT_PT0_Pj,"axG",@progbits,_Z25scatter_to_striped_kernelIxxLj512ELj1EEvPT_PT0_Pj,comdat
	.protected	_Z25scatter_to_striped_kernelIxxLj512ELj1EEvPT_PT0_Pj ; -- Begin function _Z25scatter_to_striped_kernelIxxLj512ELj1EEvPT_PT0_Pj
	.globl	_Z25scatter_to_striped_kernelIxxLj512ELj1EEvPT_PT0_Pj
	.p2align	8
	.type	_Z25scatter_to_striped_kernelIxxLj512ELj1EEvPT_PT0_Pj,@function
_Z25scatter_to_striped_kernelIxxLj512ELj1EEvPT_PT0_Pj: ; @_Z25scatter_to_striped_kernelIxxLj512ELj1EEvPT_PT0_Pj
; %bb.0:
	s_clause 0x1
	s_load_b128 s[4:7], s[0:1], 0x0
	s_load_b64 s[0:1], s[0:1], 0x10
	s_mov_b32 s3, 0
	s_lshl_b32 s2, s15, 9
	v_lshlrev_b32_e32 v1, 2, v0
	s_lshl_b64 s[8:9], s[2:3], 3
	v_lshlrev_b32_e32 v2, 3, v0
	s_waitcnt lgkmcnt(0)
	s_add_u32 s4, s4, s8
	s_addc_u32 s5, s5, s9
	s_lshl_b64 s[2:3], s[2:3], 2
	s_delay_alu instid0(SALU_CYCLE_1)
	s_add_u32 s0, s0, s2
	s_addc_u32 s1, s1, s3
	global_load_b32 v3, v1, s[0:1]
	global_load_b64 v[0:1], v2, s[4:5]
	s_add_u32 s0, s6, s8
	s_addc_u32 s1, s7, s9
	s_waitcnt vmcnt(1)
	v_lshlrev_b32_e32 v3, 3, v3
	s_waitcnt vmcnt(0)
	ds_store_b64 v3, v[0:1]
	s_waitcnt lgkmcnt(0)
	s_barrier
	buffer_gl0_inv
	ds_load_b64 v[0:1], v2
	s_waitcnt lgkmcnt(0)
	global_store_b64 v2, v[0:1], s[0:1]
	s_nop 0
	s_sendmsg sendmsg(MSG_DEALLOC_VGPRS)
	s_endpgm
	.section	.rodata,"a",@progbits
	.p2align	6, 0x0
	.amdhsa_kernel _Z25scatter_to_striped_kernelIxxLj512ELj1EEvPT_PT0_Pj
		.amdhsa_group_segment_fixed_size 4096
		.amdhsa_private_segment_fixed_size 0
		.amdhsa_kernarg_size 24
		.amdhsa_user_sgpr_count 15
		.amdhsa_user_sgpr_dispatch_ptr 0
		.amdhsa_user_sgpr_queue_ptr 0
		.amdhsa_user_sgpr_kernarg_segment_ptr 1
		.amdhsa_user_sgpr_dispatch_id 0
		.amdhsa_user_sgpr_private_segment_size 0
		.amdhsa_wavefront_size32 1
		.amdhsa_uses_dynamic_stack 0
		.amdhsa_enable_private_segment 0
		.amdhsa_system_sgpr_workgroup_id_x 1
		.amdhsa_system_sgpr_workgroup_id_y 0
		.amdhsa_system_sgpr_workgroup_id_z 0
		.amdhsa_system_sgpr_workgroup_info 0
		.amdhsa_system_vgpr_workitem_id 0
		.amdhsa_next_free_vgpr 4
		.amdhsa_next_free_sgpr 16
		.amdhsa_reserve_vcc 0
		.amdhsa_float_round_mode_32 0
		.amdhsa_float_round_mode_16_64 0
		.amdhsa_float_denorm_mode_32 3
		.amdhsa_float_denorm_mode_16_64 3
		.amdhsa_dx10_clamp 1
		.amdhsa_ieee_mode 1
		.amdhsa_fp16_overflow 0
		.amdhsa_workgroup_processor_mode 1
		.amdhsa_memory_ordered 1
		.amdhsa_forward_progress 0
		.amdhsa_shared_vgpr_count 0
		.amdhsa_exception_fp_ieee_invalid_op 0
		.amdhsa_exception_fp_denorm_src 0
		.amdhsa_exception_fp_ieee_div_zero 0
		.amdhsa_exception_fp_ieee_overflow 0
		.amdhsa_exception_fp_ieee_underflow 0
		.amdhsa_exception_fp_ieee_inexact 0
		.amdhsa_exception_int_div_zero 0
	.end_amdhsa_kernel
	.section	.text._Z25scatter_to_striped_kernelIxxLj512ELj1EEvPT_PT0_Pj,"axG",@progbits,_Z25scatter_to_striped_kernelIxxLj512ELj1EEvPT_PT0_Pj,comdat
.Lfunc_end106:
	.size	_Z25scatter_to_striped_kernelIxxLj512ELj1EEvPT_PT0_Pj, .Lfunc_end106-_Z25scatter_to_striped_kernelIxxLj512ELj1EEvPT_PT0_Pj
                                        ; -- End function
	.section	.AMDGPU.csdata,"",@progbits
; Kernel info:
; codeLenInByte = 160
; NumSgprs: 16
; NumVgprs: 4
; ScratchSize: 0
; MemoryBound: 0
; FloatMode: 240
; IeeeMode: 1
; LDSByteSize: 4096 bytes/workgroup (compile time only)
; SGPRBlocks: 1
; VGPRBlocks: 0
; NumSGPRsForWavesPerEU: 16
; NumVGPRsForWavesPerEU: 4
; Occupancy: 16
; WaveLimiterHint : 0
; COMPUTE_PGM_RSRC2:SCRATCH_EN: 0
; COMPUTE_PGM_RSRC2:USER_SGPR: 15
; COMPUTE_PGM_RSRC2:TRAP_HANDLER: 0
; COMPUTE_PGM_RSRC2:TGID_X_EN: 1
; COMPUTE_PGM_RSRC2:TGID_Y_EN: 0
; COMPUTE_PGM_RSRC2:TGID_Z_EN: 0
; COMPUTE_PGM_RSRC2:TIDIG_COMP_CNT: 0
	.section	.text._Z25scatter_to_striped_kernelIs5dummyIiELj256ELj1EEvPT_PT0_Pj,"axG",@progbits,_Z25scatter_to_striped_kernelIs5dummyIiELj256ELj1EEvPT_PT0_Pj,comdat
	.protected	_Z25scatter_to_striped_kernelIs5dummyIiELj256ELj1EEvPT_PT0_Pj ; -- Begin function _Z25scatter_to_striped_kernelIs5dummyIiELj256ELj1EEvPT_PT0_Pj
	.globl	_Z25scatter_to_striped_kernelIs5dummyIiELj256ELj1EEvPT_PT0_Pj
	.p2align	8
	.type	_Z25scatter_to_striped_kernelIs5dummyIiELj256ELj1EEvPT_PT0_Pj,@function
_Z25scatter_to_striped_kernelIs5dummyIiELj256ELj1EEvPT_PT0_Pj: ; @_Z25scatter_to_striped_kernelIs5dummyIiELj256ELj1EEvPT_PT0_Pj
; %bb.0:
	s_clause 0x1
	s_load_b128 s[4:7], s[0:1], 0x0
	s_load_b64 s[0:1], s[0:1], 0x10
	s_mov_b32 s3, 0
	s_lshl_b32 s2, s15, 8
	v_lshlrev_b32_e32 v1, 2, v0
	s_lshl_b64 s[8:9], s[2:3], 1
	v_lshlrev_b32_e32 v2, 1, v0
	v_lshlrev_b32_e32 v0, 3, v0
	s_waitcnt lgkmcnt(0)
	s_add_u32 s4, s4, s8
	s_addc_u32 s5, s5, s9
	s_lshl_b64 s[8:9], s[2:3], 2
	s_delay_alu instid0(SALU_CYCLE_1) | instskip(SKIP_4) | instid1(SALU_CYCLE_1)
	s_add_u32 s0, s0, s8
	s_addc_u32 s1, s1, s9
	global_load_b32 v1, v1, s[0:1]
	global_load_u16 v3, v2, s[4:5]
	s_lshl_b64 s[0:1], s[2:3], 3
	s_add_u32 s0, s6, s0
	s_addc_u32 s1, s7, s1
	s_waitcnt vmcnt(1)
	v_lshlrev_b32_e32 v1, 1, v1
	s_waitcnt vmcnt(0)
	ds_store_b16 v1, v3
	s_waitcnt lgkmcnt(0)
	s_barrier
	buffer_gl0_inv
	ds_load_i16 v1, v2
	s_waitcnt lgkmcnt(0)
	v_lshlrev_b32_e32 v2, 1, v1
	v_add_nc_u32_e32 v1, 1, v1
	global_store_b64 v0, v[1:2], s[0:1]
	s_nop 0
	s_sendmsg sendmsg(MSG_DEALLOC_VGPRS)
	s_endpgm
	.section	.rodata,"a",@progbits
	.p2align	6, 0x0
	.amdhsa_kernel _Z25scatter_to_striped_kernelIs5dummyIiELj256ELj1EEvPT_PT0_Pj
		.amdhsa_group_segment_fixed_size 512
		.amdhsa_private_segment_fixed_size 0
		.amdhsa_kernarg_size 24
		.amdhsa_user_sgpr_count 15
		.amdhsa_user_sgpr_dispatch_ptr 0
		.amdhsa_user_sgpr_queue_ptr 0
		.amdhsa_user_sgpr_kernarg_segment_ptr 1
		.amdhsa_user_sgpr_dispatch_id 0
		.amdhsa_user_sgpr_private_segment_size 0
		.amdhsa_wavefront_size32 1
		.amdhsa_uses_dynamic_stack 0
		.amdhsa_enable_private_segment 0
		.amdhsa_system_sgpr_workgroup_id_x 1
		.amdhsa_system_sgpr_workgroup_id_y 0
		.amdhsa_system_sgpr_workgroup_id_z 0
		.amdhsa_system_sgpr_workgroup_info 0
		.amdhsa_system_vgpr_workitem_id 0
		.amdhsa_next_free_vgpr 4
		.amdhsa_next_free_sgpr 16
		.amdhsa_reserve_vcc 0
		.amdhsa_float_round_mode_32 0
		.amdhsa_float_round_mode_16_64 0
		.amdhsa_float_denorm_mode_32 3
		.amdhsa_float_denorm_mode_16_64 3
		.amdhsa_dx10_clamp 1
		.amdhsa_ieee_mode 1
		.amdhsa_fp16_overflow 0
		.amdhsa_workgroup_processor_mode 1
		.amdhsa_memory_ordered 1
		.amdhsa_forward_progress 0
		.amdhsa_shared_vgpr_count 0
		.amdhsa_exception_fp_ieee_invalid_op 0
		.amdhsa_exception_fp_denorm_src 0
		.amdhsa_exception_fp_ieee_div_zero 0
		.amdhsa_exception_fp_ieee_overflow 0
		.amdhsa_exception_fp_ieee_underflow 0
		.amdhsa_exception_fp_ieee_inexact 0
		.amdhsa_exception_int_div_zero 0
	.end_amdhsa_kernel
	.section	.text._Z25scatter_to_striped_kernelIs5dummyIiELj256ELj1EEvPT_PT0_Pj,"axG",@progbits,_Z25scatter_to_striped_kernelIs5dummyIiELj256ELj1EEvPT_PT0_Pj,comdat
.Lfunc_end107:
	.size	_Z25scatter_to_striped_kernelIs5dummyIiELj256ELj1EEvPT_PT0_Pj, .Lfunc_end107-_Z25scatter_to_striped_kernelIs5dummyIiELj256ELj1EEvPT_PT0_Pj
                                        ; -- End function
	.section	.AMDGPU.csdata,"",@progbits
; Kernel info:
; codeLenInByte = 176
; NumSgprs: 16
; NumVgprs: 4
; ScratchSize: 0
; MemoryBound: 0
; FloatMode: 240
; IeeeMode: 1
; LDSByteSize: 512 bytes/workgroup (compile time only)
; SGPRBlocks: 1
; VGPRBlocks: 0
; NumSGPRsForWavesPerEU: 16
; NumVGPRsForWavesPerEU: 4
; Occupancy: 16
; WaveLimiterHint : 0
; COMPUTE_PGM_RSRC2:SCRATCH_EN: 0
; COMPUTE_PGM_RSRC2:USER_SGPR: 15
; COMPUTE_PGM_RSRC2:TRAP_HANDLER: 0
; COMPUTE_PGM_RSRC2:TGID_X_EN: 1
; COMPUTE_PGM_RSRC2:TGID_Y_EN: 0
; COMPUTE_PGM_RSRC2:TGID_Z_EN: 0
; COMPUTE_PGM_RSRC2:TIDIG_COMP_CNT: 0
	.section	.text._Z25scatter_to_striped_kernelIyyLj128ELj1EEvPT_PT0_Pj,"axG",@progbits,_Z25scatter_to_striped_kernelIyyLj128ELj1EEvPT_PT0_Pj,comdat
	.protected	_Z25scatter_to_striped_kernelIyyLj128ELj1EEvPT_PT0_Pj ; -- Begin function _Z25scatter_to_striped_kernelIyyLj128ELj1EEvPT_PT0_Pj
	.globl	_Z25scatter_to_striped_kernelIyyLj128ELj1EEvPT_PT0_Pj
	.p2align	8
	.type	_Z25scatter_to_striped_kernelIyyLj128ELj1EEvPT_PT0_Pj,@function
_Z25scatter_to_striped_kernelIyyLj128ELj1EEvPT_PT0_Pj: ; @_Z25scatter_to_striped_kernelIyyLj128ELj1EEvPT_PT0_Pj
; %bb.0:
	s_clause 0x1
	s_load_b128 s[4:7], s[0:1], 0x0
	s_load_b64 s[0:1], s[0:1], 0x10
	s_mov_b32 s3, 0
	s_lshl_b32 s2, s15, 7
	v_lshlrev_b32_e32 v1, 2, v0
	s_lshl_b64 s[8:9], s[2:3], 3
	v_lshlrev_b32_e32 v2, 3, v0
	s_waitcnt lgkmcnt(0)
	s_add_u32 s4, s4, s8
	s_addc_u32 s5, s5, s9
	s_lshl_b64 s[2:3], s[2:3], 2
	s_delay_alu instid0(SALU_CYCLE_1)
	s_add_u32 s0, s0, s2
	s_addc_u32 s1, s1, s3
	global_load_b32 v3, v1, s[0:1]
	global_load_b64 v[0:1], v2, s[4:5]
	s_add_u32 s0, s6, s8
	s_addc_u32 s1, s7, s9
	s_waitcnt vmcnt(1)
	v_lshlrev_b32_e32 v3, 3, v3
	s_waitcnt vmcnt(0)
	ds_store_b64 v3, v[0:1]
	s_waitcnt lgkmcnt(0)
	s_barrier
	buffer_gl0_inv
	ds_load_b64 v[0:1], v2
	s_waitcnt lgkmcnt(0)
	global_store_b64 v2, v[0:1], s[0:1]
	s_nop 0
	s_sendmsg sendmsg(MSG_DEALLOC_VGPRS)
	s_endpgm
	.section	.rodata,"a",@progbits
	.p2align	6, 0x0
	.amdhsa_kernel _Z25scatter_to_striped_kernelIyyLj128ELj1EEvPT_PT0_Pj
		.amdhsa_group_segment_fixed_size 1024
		.amdhsa_private_segment_fixed_size 0
		.amdhsa_kernarg_size 24
		.amdhsa_user_sgpr_count 15
		.amdhsa_user_sgpr_dispatch_ptr 0
		.amdhsa_user_sgpr_queue_ptr 0
		.amdhsa_user_sgpr_kernarg_segment_ptr 1
		.amdhsa_user_sgpr_dispatch_id 0
		.amdhsa_user_sgpr_private_segment_size 0
		.amdhsa_wavefront_size32 1
		.amdhsa_uses_dynamic_stack 0
		.amdhsa_enable_private_segment 0
		.amdhsa_system_sgpr_workgroup_id_x 1
		.amdhsa_system_sgpr_workgroup_id_y 0
		.amdhsa_system_sgpr_workgroup_id_z 0
		.amdhsa_system_sgpr_workgroup_info 0
		.amdhsa_system_vgpr_workitem_id 0
		.amdhsa_next_free_vgpr 4
		.amdhsa_next_free_sgpr 16
		.amdhsa_reserve_vcc 0
		.amdhsa_float_round_mode_32 0
		.amdhsa_float_round_mode_16_64 0
		.amdhsa_float_denorm_mode_32 3
		.amdhsa_float_denorm_mode_16_64 3
		.amdhsa_dx10_clamp 1
		.amdhsa_ieee_mode 1
		.amdhsa_fp16_overflow 0
		.amdhsa_workgroup_processor_mode 1
		.amdhsa_memory_ordered 1
		.amdhsa_forward_progress 0
		.amdhsa_shared_vgpr_count 0
		.amdhsa_exception_fp_ieee_invalid_op 0
		.amdhsa_exception_fp_denorm_src 0
		.amdhsa_exception_fp_ieee_div_zero 0
		.amdhsa_exception_fp_ieee_overflow 0
		.amdhsa_exception_fp_ieee_underflow 0
		.amdhsa_exception_fp_ieee_inexact 0
		.amdhsa_exception_int_div_zero 0
	.end_amdhsa_kernel
	.section	.text._Z25scatter_to_striped_kernelIyyLj128ELj1EEvPT_PT0_Pj,"axG",@progbits,_Z25scatter_to_striped_kernelIyyLj128ELj1EEvPT_PT0_Pj,comdat
.Lfunc_end108:
	.size	_Z25scatter_to_striped_kernelIyyLj128ELj1EEvPT_PT0_Pj, .Lfunc_end108-_Z25scatter_to_striped_kernelIyyLj128ELj1EEvPT_PT0_Pj
                                        ; -- End function
	.section	.AMDGPU.csdata,"",@progbits
; Kernel info:
; codeLenInByte = 160
; NumSgprs: 16
; NumVgprs: 4
; ScratchSize: 0
; MemoryBound: 0
; FloatMode: 240
; IeeeMode: 1
; LDSByteSize: 1024 bytes/workgroup (compile time only)
; SGPRBlocks: 1
; VGPRBlocks: 0
; NumSGPRsForWavesPerEU: 16
; NumVGPRsForWavesPerEU: 4
; Occupancy: 16
; WaveLimiterHint : 0
; COMPUTE_PGM_RSRC2:SCRATCH_EN: 0
; COMPUTE_PGM_RSRC2:USER_SGPR: 15
; COMPUTE_PGM_RSRC2:TRAP_HANDLER: 0
; COMPUTE_PGM_RSRC2:TGID_X_EN: 1
; COMPUTE_PGM_RSRC2:TGID_Y_EN: 0
; COMPUTE_PGM_RSRC2:TGID_Z_EN: 0
; COMPUTE_PGM_RSRC2:TIDIG_COMP_CNT: 0
	.section	.text._Z25scatter_to_striped_kernelIixLj64ELj1EEvPT_PT0_Pj,"axG",@progbits,_Z25scatter_to_striped_kernelIixLj64ELj1EEvPT_PT0_Pj,comdat
	.protected	_Z25scatter_to_striped_kernelIixLj64ELj1EEvPT_PT0_Pj ; -- Begin function _Z25scatter_to_striped_kernelIixLj64ELj1EEvPT_PT0_Pj
	.globl	_Z25scatter_to_striped_kernelIixLj64ELj1EEvPT_PT0_Pj
	.p2align	8
	.type	_Z25scatter_to_striped_kernelIixLj64ELj1EEvPT_PT0_Pj,@function
_Z25scatter_to_striped_kernelIixLj64ELj1EEvPT_PT0_Pj: ; @_Z25scatter_to_striped_kernelIixLj64ELj1EEvPT_PT0_Pj
; %bb.0:
	s_clause 0x1
	s_load_b128 s[4:7], s[0:1], 0x0
	s_load_b64 s[0:1], s[0:1], 0x10
	s_mov_b32 s3, 0
	s_lshl_b32 s2, s15, 6
	v_lshlrev_b32_e32 v1, 2, v0
	s_lshl_b64 s[8:9], s[2:3], 2
	v_lshlrev_b32_e32 v0, 3, v0
	s_waitcnt lgkmcnt(0)
	s_add_u32 s4, s4, s8
	s_addc_u32 s5, s5, s9
	s_add_u32 s0, s0, s8
	s_addc_u32 s1, s1, s9
	s_clause 0x1
	global_load_b32 v2, v1, s[0:1]
	global_load_b32 v3, v1, s[4:5]
	s_lshl_b64 s[0:1], s[2:3], 3
	s_delay_alu instid0(SALU_CYCLE_1)
	s_add_u32 s0, s6, s0
	s_addc_u32 s1, s7, s1
	s_waitcnt vmcnt(1)
	v_lshlrev_b32_e32 v2, 2, v2
	s_waitcnt vmcnt(0)
	ds_store_b32 v2, v3
	s_waitcnt lgkmcnt(0)
	s_barrier
	buffer_gl0_inv
	ds_load_b32 v1, v1
	s_waitcnt lgkmcnt(0)
	v_ashrrev_i32_e32 v2, 31, v1
	global_store_b64 v0, v[1:2], s[0:1]
	s_nop 0
	s_sendmsg sendmsg(MSG_DEALLOC_VGPRS)
	s_endpgm
	.section	.rodata,"a",@progbits
	.p2align	6, 0x0
	.amdhsa_kernel _Z25scatter_to_striped_kernelIixLj64ELj1EEvPT_PT0_Pj
		.amdhsa_group_segment_fixed_size 256
		.amdhsa_private_segment_fixed_size 0
		.amdhsa_kernarg_size 24
		.amdhsa_user_sgpr_count 15
		.amdhsa_user_sgpr_dispatch_ptr 0
		.amdhsa_user_sgpr_queue_ptr 0
		.amdhsa_user_sgpr_kernarg_segment_ptr 1
		.amdhsa_user_sgpr_dispatch_id 0
		.amdhsa_user_sgpr_private_segment_size 0
		.amdhsa_wavefront_size32 1
		.amdhsa_uses_dynamic_stack 0
		.amdhsa_enable_private_segment 0
		.amdhsa_system_sgpr_workgroup_id_x 1
		.amdhsa_system_sgpr_workgroup_id_y 0
		.amdhsa_system_sgpr_workgroup_id_z 0
		.amdhsa_system_sgpr_workgroup_info 0
		.amdhsa_system_vgpr_workitem_id 0
		.amdhsa_next_free_vgpr 4
		.amdhsa_next_free_sgpr 16
		.amdhsa_reserve_vcc 0
		.amdhsa_float_round_mode_32 0
		.amdhsa_float_round_mode_16_64 0
		.amdhsa_float_denorm_mode_32 3
		.amdhsa_float_denorm_mode_16_64 3
		.amdhsa_dx10_clamp 1
		.amdhsa_ieee_mode 1
		.amdhsa_fp16_overflow 0
		.amdhsa_workgroup_processor_mode 1
		.amdhsa_memory_ordered 1
		.amdhsa_forward_progress 0
		.amdhsa_shared_vgpr_count 0
		.amdhsa_exception_fp_ieee_invalid_op 0
		.amdhsa_exception_fp_denorm_src 0
		.amdhsa_exception_fp_ieee_div_zero 0
		.amdhsa_exception_fp_ieee_overflow 0
		.amdhsa_exception_fp_ieee_underflow 0
		.amdhsa_exception_fp_ieee_inexact 0
		.amdhsa_exception_int_div_zero 0
	.end_amdhsa_kernel
	.section	.text._Z25scatter_to_striped_kernelIixLj64ELj1EEvPT_PT0_Pj,"axG",@progbits,_Z25scatter_to_striped_kernelIixLj64ELj1EEvPT_PT0_Pj,comdat
.Lfunc_end109:
	.size	_Z25scatter_to_striped_kernelIixLj64ELj1EEvPT_PT0_Pj, .Lfunc_end109-_Z25scatter_to_striped_kernelIixLj64ELj1EEvPT_PT0_Pj
                                        ; -- End function
	.section	.AMDGPU.csdata,"",@progbits
; Kernel info:
; codeLenInByte = 168
; NumSgprs: 16
; NumVgprs: 4
; ScratchSize: 0
; MemoryBound: 0
; FloatMode: 240
; IeeeMode: 1
; LDSByteSize: 256 bytes/workgroup (compile time only)
; SGPRBlocks: 1
; VGPRBlocks: 0
; NumSGPRsForWavesPerEU: 16
; NumVGPRsForWavesPerEU: 4
; Occupancy: 16
; WaveLimiterHint : 0
; COMPUTE_PGM_RSRC2:SCRATCH_EN: 0
; COMPUTE_PGM_RSRC2:USER_SGPR: 15
; COMPUTE_PGM_RSRC2:TRAP_HANDLER: 0
; COMPUTE_PGM_RSRC2:TGID_X_EN: 1
; COMPUTE_PGM_RSRC2:TGID_Y_EN: 0
; COMPUTE_PGM_RSRC2:TGID_Z_EN: 0
; COMPUTE_PGM_RSRC2:TIDIG_COMP_CNT: 0
	.section	.text._Z25scatter_to_striped_kernelI6__halfS0_Lj512ELj4EEvPT_PT0_Pj,"axG",@progbits,_Z25scatter_to_striped_kernelI6__halfS0_Lj512ELj4EEvPT_PT0_Pj,comdat
	.protected	_Z25scatter_to_striped_kernelI6__halfS0_Lj512ELj4EEvPT_PT0_Pj ; -- Begin function _Z25scatter_to_striped_kernelI6__halfS0_Lj512ELj4EEvPT_PT0_Pj
	.globl	_Z25scatter_to_striped_kernelI6__halfS0_Lj512ELj4EEvPT_PT0_Pj
	.p2align	8
	.type	_Z25scatter_to_striped_kernelI6__halfS0_Lj512ELj4EEvPT_PT0_Pj,@function
_Z25scatter_to_striped_kernelI6__halfS0_Lj512ELj4EEvPT_PT0_Pj: ; @_Z25scatter_to_striped_kernelI6__halfS0_Lj512ELj4EEvPT_PT0_Pj
; %bb.0:
	s_clause 0x1
	s_load_b128 s[4:7], s[0:1], 0x0
	s_load_b64 s[0:1], s[0:1], 0x10
	s_mov_b32 s3, 0
	s_lshl_b32 s2, s15, 9
	v_lshlrev_b32_e32 v1, 4, v0
	s_lshl_b64 s[8:9], s[2:3], 1
	v_lshlrev_b32_e32 v7, 3, v0
	v_lshlrev_b32_e32 v8, 1, v0
	s_waitcnt lgkmcnt(0)
	s_add_u32 s4, s4, s8
	s_addc_u32 s5, s5, s9
	s_lshl_b64 s[2:3], s[2:3], 2
	s_delay_alu instid0(SALU_CYCLE_1)
	s_add_u32 s0, s0, s2
	s_addc_u32 s1, s1, s3
	global_load_b128 v[1:4], v1, s[0:1]
	global_load_b64 v[5:6], v7, s[4:5]
	s_add_u32 s0, s6, s8
	s_addc_u32 s1, s7, s9
	s_waitcnt vmcnt(1)
	v_lshlrev_b32_e32 v1, 1, v1
	v_lshlrev_b32_e32 v2, 1, v2
	;; [unrolled: 1-line block ×4, first 2 shown]
	s_waitcnt vmcnt(0)
	ds_store_b16 v1, v5
	ds_store_b16_d16_hi v2, v5
	ds_store_b16 v3, v6
	ds_store_b16_d16_hi v4, v6
	s_waitcnt lgkmcnt(0)
	s_barrier
	buffer_gl0_inv
	ds_load_u16 v0, v8
	ds_load_u16 v1, v8 offset:512
	s_waitcnt lgkmcnt(1)
	ds_load_u16_d16_hi v0, v8 offset:256
	s_waitcnt lgkmcnt(1)
	ds_load_u16_d16_hi v1, v8 offset:768
	s_waitcnt lgkmcnt(0)
	global_store_b64 v7, v[0:1], s[0:1]
	s_nop 0
	s_sendmsg sendmsg(MSG_DEALLOC_VGPRS)
	s_endpgm
	.section	.rodata,"a",@progbits
	.p2align	6, 0x0
	.amdhsa_kernel _Z25scatter_to_striped_kernelI6__halfS0_Lj512ELj4EEvPT_PT0_Pj
		.amdhsa_group_segment_fixed_size 1056
		.amdhsa_private_segment_fixed_size 0
		.amdhsa_kernarg_size 24
		.amdhsa_user_sgpr_count 15
		.amdhsa_user_sgpr_dispatch_ptr 0
		.amdhsa_user_sgpr_queue_ptr 0
		.amdhsa_user_sgpr_kernarg_segment_ptr 1
		.amdhsa_user_sgpr_dispatch_id 0
		.amdhsa_user_sgpr_private_segment_size 0
		.amdhsa_wavefront_size32 1
		.amdhsa_uses_dynamic_stack 0
		.amdhsa_enable_private_segment 0
		.amdhsa_system_sgpr_workgroup_id_x 1
		.amdhsa_system_sgpr_workgroup_id_y 0
		.amdhsa_system_sgpr_workgroup_id_z 0
		.amdhsa_system_sgpr_workgroup_info 0
		.amdhsa_system_vgpr_workitem_id 0
		.amdhsa_next_free_vgpr 9
		.amdhsa_next_free_sgpr 16
		.amdhsa_reserve_vcc 0
		.amdhsa_float_round_mode_32 0
		.amdhsa_float_round_mode_16_64 0
		.amdhsa_float_denorm_mode_32 3
		.amdhsa_float_denorm_mode_16_64 3
		.amdhsa_dx10_clamp 1
		.amdhsa_ieee_mode 1
		.amdhsa_fp16_overflow 0
		.amdhsa_workgroup_processor_mode 1
		.amdhsa_memory_ordered 1
		.amdhsa_forward_progress 0
		.amdhsa_shared_vgpr_count 0
		.amdhsa_exception_fp_ieee_invalid_op 0
		.amdhsa_exception_fp_denorm_src 0
		.amdhsa_exception_fp_ieee_div_zero 0
		.amdhsa_exception_fp_ieee_overflow 0
		.amdhsa_exception_fp_ieee_underflow 0
		.amdhsa_exception_fp_ieee_inexact 0
		.amdhsa_exception_int_div_zero 0
	.end_amdhsa_kernel
	.section	.text._Z25scatter_to_striped_kernelI6__halfS0_Lj512ELj4EEvPT_PT0_Pj,"axG",@progbits,_Z25scatter_to_striped_kernelI6__halfS0_Lj512ELj4EEvPT_PT0_Pj,comdat
.Lfunc_end110:
	.size	_Z25scatter_to_striped_kernelI6__halfS0_Lj512ELj4EEvPT_PT0_Pj, .Lfunc_end110-_Z25scatter_to_striped_kernelI6__halfS0_Lj512ELj4EEvPT_PT0_Pj
                                        ; -- End function
	.section	.AMDGPU.csdata,"",@progbits
; Kernel info:
; codeLenInByte = 232
; NumSgprs: 16
; NumVgprs: 9
; ScratchSize: 0
; MemoryBound: 0
; FloatMode: 240
; IeeeMode: 1
; LDSByteSize: 1056 bytes/workgroup (compile time only)
; SGPRBlocks: 1
; VGPRBlocks: 1
; NumSGPRsForWavesPerEU: 16
; NumVGPRsForWavesPerEU: 9
; Occupancy: 16
; WaveLimiterHint : 0
; COMPUTE_PGM_RSRC2:SCRATCH_EN: 0
; COMPUTE_PGM_RSRC2:USER_SGPR: 15
; COMPUTE_PGM_RSRC2:TRAP_HANDLER: 0
; COMPUTE_PGM_RSRC2:TGID_X_EN: 1
; COMPUTE_PGM_RSRC2:TGID_Y_EN: 0
; COMPUTE_PGM_RSRC2:TGID_Z_EN: 0
; COMPUTE_PGM_RSRC2:TIDIG_COMP_CNT: 0
	.section	.text._Z25scatter_to_striped_kernelI12hip_bfloat16S0_Lj512ELj4EEvPT_PT0_Pj,"axG",@progbits,_Z25scatter_to_striped_kernelI12hip_bfloat16S0_Lj512ELj4EEvPT_PT0_Pj,comdat
	.protected	_Z25scatter_to_striped_kernelI12hip_bfloat16S0_Lj512ELj4EEvPT_PT0_Pj ; -- Begin function _Z25scatter_to_striped_kernelI12hip_bfloat16S0_Lj512ELj4EEvPT_PT0_Pj
	.globl	_Z25scatter_to_striped_kernelI12hip_bfloat16S0_Lj512ELj4EEvPT_PT0_Pj
	.p2align	8
	.type	_Z25scatter_to_striped_kernelI12hip_bfloat16S0_Lj512ELj4EEvPT_PT0_Pj,@function
_Z25scatter_to_striped_kernelI12hip_bfloat16S0_Lj512ELj4EEvPT_PT0_Pj: ; @_Z25scatter_to_striped_kernelI12hip_bfloat16S0_Lj512ELj4EEvPT_PT0_Pj
; %bb.0:
	s_clause 0x1
	s_load_b128 s[4:7], s[0:1], 0x0
	s_load_b64 s[0:1], s[0:1], 0x10
	s_mov_b32 s3, 0
	s_lshl_b32 s2, s15, 9
	v_lshlrev_b32_e32 v1, 4, v0
	s_lshl_b64 s[8:9], s[2:3], 1
	v_lshlrev_b32_e32 v7, 3, v0
	v_lshlrev_b32_e32 v8, 1, v0
	s_waitcnt lgkmcnt(0)
	s_add_u32 s4, s4, s8
	s_addc_u32 s5, s5, s9
	s_lshl_b64 s[2:3], s[2:3], 2
	s_delay_alu instid0(SALU_CYCLE_1)
	s_add_u32 s0, s0, s2
	s_addc_u32 s1, s1, s3
	global_load_b128 v[1:4], v1, s[0:1]
	global_load_b64 v[5:6], v7, s[4:5]
	s_add_u32 s0, s6, s8
	s_addc_u32 s1, s7, s9
	s_waitcnt vmcnt(1)
	v_lshlrev_b32_e32 v1, 1, v1
	v_lshlrev_b32_e32 v2, 1, v2
	;; [unrolled: 1-line block ×4, first 2 shown]
	s_waitcnt vmcnt(0)
	ds_store_b16 v1, v5
	ds_store_b16_d16_hi v2, v5
	ds_store_b16 v3, v6
	ds_store_b16_d16_hi v4, v6
	s_waitcnt lgkmcnt(0)
	s_barrier
	buffer_gl0_inv
	ds_load_u16 v0, v8
	ds_load_u16 v1, v8 offset:512
	s_waitcnt lgkmcnt(1)
	ds_load_u16_d16_hi v0, v8 offset:256
	s_waitcnt lgkmcnt(1)
	ds_load_u16_d16_hi v1, v8 offset:768
	s_waitcnt lgkmcnt(0)
	global_store_b64 v7, v[0:1], s[0:1]
	s_nop 0
	s_sendmsg sendmsg(MSG_DEALLOC_VGPRS)
	s_endpgm
	.section	.rodata,"a",@progbits
	.p2align	6, 0x0
	.amdhsa_kernel _Z25scatter_to_striped_kernelI12hip_bfloat16S0_Lj512ELj4EEvPT_PT0_Pj
		.amdhsa_group_segment_fixed_size 1056
		.amdhsa_private_segment_fixed_size 0
		.amdhsa_kernarg_size 24
		.amdhsa_user_sgpr_count 15
		.amdhsa_user_sgpr_dispatch_ptr 0
		.amdhsa_user_sgpr_queue_ptr 0
		.amdhsa_user_sgpr_kernarg_segment_ptr 1
		.amdhsa_user_sgpr_dispatch_id 0
		.amdhsa_user_sgpr_private_segment_size 0
		.amdhsa_wavefront_size32 1
		.amdhsa_uses_dynamic_stack 0
		.amdhsa_enable_private_segment 0
		.amdhsa_system_sgpr_workgroup_id_x 1
		.amdhsa_system_sgpr_workgroup_id_y 0
		.amdhsa_system_sgpr_workgroup_id_z 0
		.amdhsa_system_sgpr_workgroup_info 0
		.amdhsa_system_vgpr_workitem_id 0
		.amdhsa_next_free_vgpr 9
		.amdhsa_next_free_sgpr 16
		.amdhsa_reserve_vcc 0
		.amdhsa_float_round_mode_32 0
		.amdhsa_float_round_mode_16_64 0
		.amdhsa_float_denorm_mode_32 3
		.amdhsa_float_denorm_mode_16_64 3
		.amdhsa_dx10_clamp 1
		.amdhsa_ieee_mode 1
		.amdhsa_fp16_overflow 0
		.amdhsa_workgroup_processor_mode 1
		.amdhsa_memory_ordered 1
		.amdhsa_forward_progress 0
		.amdhsa_shared_vgpr_count 0
		.amdhsa_exception_fp_ieee_invalid_op 0
		.amdhsa_exception_fp_denorm_src 0
		.amdhsa_exception_fp_ieee_div_zero 0
		.amdhsa_exception_fp_ieee_overflow 0
		.amdhsa_exception_fp_ieee_underflow 0
		.amdhsa_exception_fp_ieee_inexact 0
		.amdhsa_exception_int_div_zero 0
	.end_amdhsa_kernel
	.section	.text._Z25scatter_to_striped_kernelI12hip_bfloat16S0_Lj512ELj4EEvPT_PT0_Pj,"axG",@progbits,_Z25scatter_to_striped_kernelI12hip_bfloat16S0_Lj512ELj4EEvPT_PT0_Pj,comdat
.Lfunc_end111:
	.size	_Z25scatter_to_striped_kernelI12hip_bfloat16S0_Lj512ELj4EEvPT_PT0_Pj, .Lfunc_end111-_Z25scatter_to_striped_kernelI12hip_bfloat16S0_Lj512ELj4EEvPT_PT0_Pj
                                        ; -- End function
	.section	.AMDGPU.csdata,"",@progbits
; Kernel info:
; codeLenInByte = 232
; NumSgprs: 16
; NumVgprs: 9
; ScratchSize: 0
; MemoryBound: 0
; FloatMode: 240
; IeeeMode: 1
; LDSByteSize: 1056 bytes/workgroup (compile time only)
; SGPRBlocks: 1
; VGPRBlocks: 1
; NumSGPRsForWavesPerEU: 16
; NumVGPRsForWavesPerEU: 9
; Occupancy: 16
; WaveLimiterHint : 0
; COMPUTE_PGM_RSRC2:SCRATCH_EN: 0
; COMPUTE_PGM_RSRC2:USER_SGPR: 15
; COMPUTE_PGM_RSRC2:TRAP_HANDLER: 0
; COMPUTE_PGM_RSRC2:TGID_X_EN: 1
; COMPUTE_PGM_RSRC2:TGID_Y_EN: 0
; COMPUTE_PGM_RSRC2:TGID_Z_EN: 0
; COMPUTE_PGM_RSRC2:TIDIG_COMP_CNT: 0
	.section	.text._Z25scatter_to_striped_kernelIfdLj512ELj4EEvPT_PT0_Pj,"axG",@progbits,_Z25scatter_to_striped_kernelIfdLj512ELj4EEvPT_PT0_Pj,comdat
	.protected	_Z25scatter_to_striped_kernelIfdLj512ELj4EEvPT_PT0_Pj ; -- Begin function _Z25scatter_to_striped_kernelIfdLj512ELj4EEvPT_PT0_Pj
	.globl	_Z25scatter_to_striped_kernelIfdLj512ELj4EEvPT_PT0_Pj
	.p2align	8
	.type	_Z25scatter_to_striped_kernelIfdLj512ELj4EEvPT_PT0_Pj,@function
_Z25scatter_to_striped_kernelIfdLj512ELj4EEvPT_PT0_Pj: ; @_Z25scatter_to_striped_kernelIfdLj512ELj4EEvPT_PT0_Pj
; %bb.0:
	s_clause 0x1
	s_load_b128 s[4:7], s[0:1], 0x0
	s_load_b64 s[0:1], s[0:1], 0x10
	s_mov_b32 s3, 0
	s_lshl_b32 s2, s15, 9
	v_lshlrev_b32_e32 v5, 4, v0
	s_lshl_b64 s[8:9], s[2:3], 2
	v_lshlrev_b32_e32 v9, 2, v0
	v_lshlrev_b32_e32 v0, 5, v0
	s_waitcnt lgkmcnt(0)
	s_add_u32 s4, s4, s8
	s_addc_u32 s5, s5, s9
	s_add_u32 s0, s0, s8
	s_addc_u32 s1, s1, s9
	s_clause 0x1
	global_load_b128 v[1:4], v5, s[0:1]
	global_load_b128 v[5:8], v5, s[4:5]
	s_lshl_b64 s[0:1], s[2:3], 3
	s_delay_alu instid0(SALU_CYCLE_1)
	s_add_u32 s0, s6, s0
	s_addc_u32 s1, s7, s1
	s_waitcnt vmcnt(1)
	v_lshlrev_b32_e32 v1, 2, v1
	v_lshlrev_b32_e32 v2, 2, v2
	;; [unrolled: 1-line block ×4, first 2 shown]
	s_waitcnt vmcnt(0)
	ds_store_b32 v1, v5
	ds_store_b32 v2, v6
	;; [unrolled: 1-line block ×4, first 2 shown]
	s_waitcnt lgkmcnt(0)
	s_barrier
	buffer_gl0_inv
	ds_load_2addr_stride64_b32 v[2:3], v9 offset1:2
	ds_load_2addr_stride64_b32 v[6:7], v9 offset0:4 offset1:6
	s_waitcnt lgkmcnt(1)
	v_cvt_f64_f32_e32 v[1:2], v2
	v_cvt_f64_f32_e32 v[3:4], v3
	s_waitcnt lgkmcnt(0)
	v_cvt_f64_f32_e32 v[5:6], v6
	v_cvt_f64_f32_e32 v[7:8], v7
	s_clause 0x1
	global_store_b128 v0, v[1:4], s[0:1]
	global_store_b128 v0, v[5:8], s[0:1] offset:16
	s_nop 0
	s_sendmsg sendmsg(MSG_DEALLOC_VGPRS)
	s_endpgm
	.section	.rodata,"a",@progbits
	.p2align	6, 0x0
	.amdhsa_kernel _Z25scatter_to_striped_kernelIfdLj512ELj4EEvPT_PT0_Pj
		.amdhsa_group_segment_fixed_size 2112
		.amdhsa_private_segment_fixed_size 0
		.amdhsa_kernarg_size 24
		.amdhsa_user_sgpr_count 15
		.amdhsa_user_sgpr_dispatch_ptr 0
		.amdhsa_user_sgpr_queue_ptr 0
		.amdhsa_user_sgpr_kernarg_segment_ptr 1
		.amdhsa_user_sgpr_dispatch_id 0
		.amdhsa_user_sgpr_private_segment_size 0
		.amdhsa_wavefront_size32 1
		.amdhsa_uses_dynamic_stack 0
		.amdhsa_enable_private_segment 0
		.amdhsa_system_sgpr_workgroup_id_x 1
		.amdhsa_system_sgpr_workgroup_id_y 0
		.amdhsa_system_sgpr_workgroup_id_z 0
		.amdhsa_system_sgpr_workgroup_info 0
		.amdhsa_system_vgpr_workitem_id 0
		.amdhsa_next_free_vgpr 10
		.amdhsa_next_free_sgpr 16
		.amdhsa_reserve_vcc 0
		.amdhsa_float_round_mode_32 0
		.amdhsa_float_round_mode_16_64 0
		.amdhsa_float_denorm_mode_32 3
		.amdhsa_float_denorm_mode_16_64 3
		.amdhsa_dx10_clamp 1
		.amdhsa_ieee_mode 1
		.amdhsa_fp16_overflow 0
		.amdhsa_workgroup_processor_mode 1
		.amdhsa_memory_ordered 1
		.amdhsa_forward_progress 0
		.amdhsa_shared_vgpr_count 0
		.amdhsa_exception_fp_ieee_invalid_op 0
		.amdhsa_exception_fp_denorm_src 0
		.amdhsa_exception_fp_ieee_div_zero 0
		.amdhsa_exception_fp_ieee_overflow 0
		.amdhsa_exception_fp_ieee_underflow 0
		.amdhsa_exception_fp_ieee_inexact 0
		.amdhsa_exception_int_div_zero 0
	.end_amdhsa_kernel
	.section	.text._Z25scatter_to_striped_kernelIfdLj512ELj4EEvPT_PT0_Pj,"axG",@progbits,_Z25scatter_to_striped_kernelIfdLj512ELj4EEvPT_PT0_Pj,comdat
.Lfunc_end112:
	.size	_Z25scatter_to_striped_kernelIfdLj512ELj4EEvPT_PT0_Pj, .Lfunc_end112-_Z25scatter_to_striped_kernelIfdLj512ELj4EEvPT_PT0_Pj
                                        ; -- End function
	.section	.AMDGPU.csdata,"",@progbits
; Kernel info:
; codeLenInByte = 244
; NumSgprs: 16
; NumVgprs: 10
; ScratchSize: 0
; MemoryBound: 0
; FloatMode: 240
; IeeeMode: 1
; LDSByteSize: 2112 bytes/workgroup (compile time only)
; SGPRBlocks: 1
; VGPRBlocks: 1
; NumSGPRsForWavesPerEU: 16
; NumVGPRsForWavesPerEU: 10
; Occupancy: 16
; WaveLimiterHint : 0
; COMPUTE_PGM_RSRC2:SCRATCH_EN: 0
; COMPUTE_PGM_RSRC2:USER_SGPR: 15
; COMPUTE_PGM_RSRC2:TRAP_HANDLER: 0
; COMPUTE_PGM_RSRC2:TGID_X_EN: 1
; COMPUTE_PGM_RSRC2:TGID_Y_EN: 0
; COMPUTE_PGM_RSRC2:TGID_Z_EN: 0
; COMPUTE_PGM_RSRC2:TIDIG_COMP_CNT: 0
	.section	.text._Z25scatter_to_striped_kernelIiiLj512ELj4EEvPT_PT0_Pj,"axG",@progbits,_Z25scatter_to_striped_kernelIiiLj512ELj4EEvPT_PT0_Pj,comdat
	.protected	_Z25scatter_to_striped_kernelIiiLj512ELj4EEvPT_PT0_Pj ; -- Begin function _Z25scatter_to_striped_kernelIiiLj512ELj4EEvPT_PT0_Pj
	.globl	_Z25scatter_to_striped_kernelIiiLj512ELj4EEvPT_PT0_Pj
	.p2align	8
	.type	_Z25scatter_to_striped_kernelIiiLj512ELj4EEvPT_PT0_Pj,@function
_Z25scatter_to_striped_kernelIiiLj512ELj4EEvPT_PT0_Pj: ; @_Z25scatter_to_striped_kernelIiiLj512ELj4EEvPT_PT0_Pj
; %bb.0:
	s_clause 0x1
	s_load_b128 s[4:7], s[0:1], 0x0
	s_load_b64 s[0:1], s[0:1], 0x10
	s_mov_b32 s3, 0
	s_lshl_b32 s2, s15, 9
	v_lshlrev_b32_e32 v9, 4, v0
	s_lshl_b64 s[2:3], s[2:3], 2
	v_lshlrev_b32_e32 v10, 2, v0
	s_waitcnt lgkmcnt(0)
	s_add_u32 s4, s4, s2
	s_addc_u32 s5, s5, s3
	s_add_u32 s0, s0, s2
	s_addc_u32 s1, s1, s3
	s_clause 0x1
	global_load_b128 v[1:4], v9, s[0:1]
	global_load_b128 v[5:8], v9, s[4:5]
	s_add_u32 s0, s6, s2
	s_addc_u32 s1, s7, s3
	s_waitcnt vmcnt(1)
	v_lshlrev_b32_e32 v1, 2, v1
	v_lshlrev_b32_e32 v2, 2, v2
	v_lshlrev_b32_e32 v3, 2, v3
	v_lshlrev_b32_e32 v4, 2, v4
	s_waitcnt vmcnt(0)
	ds_store_b32 v1, v5
	ds_store_b32 v2, v6
	;; [unrolled: 1-line block ×4, first 2 shown]
	s_waitcnt lgkmcnt(0)
	s_barrier
	buffer_gl0_inv
	ds_load_2addr_stride64_b32 v[0:1], v10 offset1:2
	ds_load_2addr_stride64_b32 v[2:3], v10 offset0:4 offset1:6
	s_waitcnt lgkmcnt(0)
	global_store_b128 v9, v[0:3], s[0:1]
	s_nop 0
	s_sendmsg sendmsg(MSG_DEALLOC_VGPRS)
	s_endpgm
	.section	.rodata,"a",@progbits
	.p2align	6, 0x0
	.amdhsa_kernel _Z25scatter_to_striped_kernelIiiLj512ELj4EEvPT_PT0_Pj
		.amdhsa_group_segment_fixed_size 2112
		.amdhsa_private_segment_fixed_size 0
		.amdhsa_kernarg_size 24
		.amdhsa_user_sgpr_count 15
		.amdhsa_user_sgpr_dispatch_ptr 0
		.amdhsa_user_sgpr_queue_ptr 0
		.amdhsa_user_sgpr_kernarg_segment_ptr 1
		.amdhsa_user_sgpr_dispatch_id 0
		.amdhsa_user_sgpr_private_segment_size 0
		.amdhsa_wavefront_size32 1
		.amdhsa_uses_dynamic_stack 0
		.amdhsa_enable_private_segment 0
		.amdhsa_system_sgpr_workgroup_id_x 1
		.amdhsa_system_sgpr_workgroup_id_y 0
		.amdhsa_system_sgpr_workgroup_id_z 0
		.amdhsa_system_sgpr_workgroup_info 0
		.amdhsa_system_vgpr_workitem_id 0
		.amdhsa_next_free_vgpr 11
		.amdhsa_next_free_sgpr 16
		.amdhsa_reserve_vcc 0
		.amdhsa_float_round_mode_32 0
		.amdhsa_float_round_mode_16_64 0
		.amdhsa_float_denorm_mode_32 3
		.amdhsa_float_denorm_mode_16_64 3
		.amdhsa_dx10_clamp 1
		.amdhsa_ieee_mode 1
		.amdhsa_fp16_overflow 0
		.amdhsa_workgroup_processor_mode 1
		.amdhsa_memory_ordered 1
		.amdhsa_forward_progress 0
		.amdhsa_shared_vgpr_count 0
		.amdhsa_exception_fp_ieee_invalid_op 0
		.amdhsa_exception_fp_denorm_src 0
		.amdhsa_exception_fp_ieee_div_zero 0
		.amdhsa_exception_fp_ieee_overflow 0
		.amdhsa_exception_fp_ieee_underflow 0
		.amdhsa_exception_fp_ieee_inexact 0
		.amdhsa_exception_int_div_zero 0
	.end_amdhsa_kernel
	.section	.text._Z25scatter_to_striped_kernelIiiLj512ELj4EEvPT_PT0_Pj,"axG",@progbits,_Z25scatter_to_striped_kernelIiiLj512ELj4EEvPT_PT0_Pj,comdat
.Lfunc_end113:
	.size	_Z25scatter_to_striped_kernelIiiLj512ELj4EEvPT_PT0_Pj, .Lfunc_end113-_Z25scatter_to_striped_kernelIiiLj512ELj4EEvPT_PT0_Pj
                                        ; -- End function
	.section	.AMDGPU.csdata,"",@progbits
; Kernel info:
; codeLenInByte = 200
; NumSgprs: 16
; NumVgprs: 11
; ScratchSize: 0
; MemoryBound: 0
; FloatMode: 240
; IeeeMode: 1
; LDSByteSize: 2112 bytes/workgroup (compile time only)
; SGPRBlocks: 1
; VGPRBlocks: 1
; NumSGPRsForWavesPerEU: 16
; NumVGPRsForWavesPerEU: 11
; Occupancy: 16
; WaveLimiterHint : 0
; COMPUTE_PGM_RSRC2:SCRATCH_EN: 0
; COMPUTE_PGM_RSRC2:USER_SGPR: 15
; COMPUTE_PGM_RSRC2:TRAP_HANDLER: 0
; COMPUTE_PGM_RSRC2:TGID_X_EN: 1
; COMPUTE_PGM_RSRC2:TGID_Y_EN: 0
; COMPUTE_PGM_RSRC2:TGID_Z_EN: 0
; COMPUTE_PGM_RSRC2:TIDIG_COMP_CNT: 0
	.text
	.p2alignl 7, 3214868480
	.fill 96, 4, 3214868480
	.type	__hip_cuid_cc17b9ba32e8c992,@object ; @__hip_cuid_cc17b9ba32e8c992
	.section	.bss,"aw",@nobits
	.globl	__hip_cuid_cc17b9ba32e8c992
__hip_cuid_cc17b9ba32e8c992:
	.byte	0                               ; 0x0
	.size	__hip_cuid_cc17b9ba32e8c992, 1

	.ident	"AMD clang version 19.0.0git (https://github.com/RadeonOpenCompute/llvm-project roc-6.4.0 25133 c7fe45cf4b819c5991fe208aaa96edf142730f1d)"
	.section	".note.GNU-stack","",@progbits
	.addrsig
	.addrsig_sym __hip_cuid_cc17b9ba32e8c992
	.amdgpu_metadata
---
amdhsa.kernels:
  - .args:
      - .address_space:  global
        .offset:         0
        .size:           8
        .value_kind:     global_buffer
      - .address_space:  global
        .offset:         8
        .size:           8
        .value_kind:     global_buffer
    .group_segment_fixed_size: 4224
    .kernarg_segment_align: 8
    .kernarg_segment_size: 16
    .language:       OpenCL C
    .language_version:
      - 2
      - 0
    .max_flat_workgroup_size: 512
    .name:           _Z25blocked_to_striped_kernelIsiLj2106ELj9EEvPT_PT0_
    .private_segment_fixed_size: 0
    .sgpr_count:     16
    .sgpr_spill_count: 0
    .symbol:         _Z25blocked_to_striped_kernelIsiLj2106ELj9EEvPT_PT0_.kd
    .uniform_work_group_size: 1
    .uses_dynamic_stack: false
    .vgpr_count:     10
    .vgpr_spill_count: 0
    .wavefront_size: 32
    .workgroup_processor_mode: 1
  - .args:
      - .address_space:  global
        .offset:         0
        .size:           8
        .value_kind:     global_buffer
      - .address_space:  global
        .offset:         8
        .size:           8
        .value_kind:     global_buffer
    .group_segment_fixed_size: 608
    .kernarg_segment_align: 8
    .kernarg_segment_size: 16
    .language:       OpenCL C
    .language_version:
      - 2
      - 0
    .max_flat_workgroup_size: 512
    .name:           _Z25blocked_to_striped_kernelItjLj300ELj3EEvPT_PT0_
    .private_segment_fixed_size: 0
    .sgpr_count:     16
    .sgpr_spill_count: 0
    .symbol:         _Z25blocked_to_striped_kernelItjLj300ELj3EEvPT_PT0_.kd
    .uniform_work_group_size: 1
    .uses_dynamic_stack: false
    .vgpr_count:     6
    .vgpr_spill_count: 0
    .wavefront_size: 32
    .workgroup_processor_mode: 1
  - .args:
      - .address_space:  global
        .offset:         0
        .size:           8
        .value_kind:     global_buffer
      - .address_space:  global
        .offset:         8
        .size:           8
        .value_kind:     global_buffer
    .group_segment_fixed_size: 960
    .kernarg_segment_align: 8
    .kernarg_segment_size: 16
    .language:       OpenCL C
    .language_version:
      - 2
      - 0
    .max_flat_workgroup_size: 512
    .name:           _Z25blocked_to_striped_kernelIc5dummyIdELj928ELj2EEvPT_PT0_
    .private_segment_fixed_size: 0
    .sgpr_count:     16
    .sgpr_spill_count: 0
    .symbol:         _Z25blocked_to_striped_kernelIc5dummyIdELj928ELj2EEvPT_PT0_.kd
    .uniform_work_group_size: 1
    .uses_dynamic_stack: false
    .vgpr_count:     9
    .vgpr_spill_count: 0
    .wavefront_size: 32
    .workgroup_processor_mode: 1
  - .args:
      - .address_space:  global
        .offset:         0
        .size:           8
        .value_kind:     global_buffer
      - .address_space:  global
        .offset:         8
        .size:           8
        .value_kind:     global_buffer
    .group_segment_fixed_size: 672
    .kernarg_segment_align: 8
    .kernarg_segment_size: 16
    .language:       OpenCL C
    .language_version:
      - 2
      - 0
    .max_flat_workgroup_size: 512
    .name:           _Z25blocked_to_striped_kernelIfiLj165ELj5EEvPT_PT0_
    .private_segment_fixed_size: 0
    .sgpr_count:     16
    .sgpr_spill_count: 0
    .symbol:         _Z25blocked_to_striped_kernelIfiLj165ELj5EEvPT_PT0_.kd
    .uniform_work_group_size: 1
    .uses_dynamic_stack: false
    .vgpr_count:     8
    .vgpr_spill_count: 0
    .wavefront_size: 32
    .workgroup_processor_mode: 1
  - .args:
      - .address_space:  global
        .offset:         0
        .size:           8
        .value_kind:     global_buffer
      - .address_space:  global
        .offset:         8
        .size:           8
        .value_kind:     global_buffer
    .group_segment_fixed_size: 672
    .kernarg_segment_align: 8
    .kernarg_segment_size: 16
    .language:       OpenCL C
    .language_version:
      - 2
      - 0
    .max_flat_workgroup_size: 512
    .name:           _Z25blocked_to_striped_kernelIidLj165ELj5EEvPT_PT0_
    .private_segment_fixed_size: 0
    .sgpr_count:     16
    .sgpr_spill_count: 0
    .symbol:         _Z25blocked_to_striped_kernelIidLj165ELj5EEvPT_PT0_.kd
    .uniform_work_group_size: 1
    .uses_dynamic_stack: false
    .vgpr_count:     11
    .vgpr_spill_count: 0
    .wavefront_size: 32
    .workgroup_processor_mode: 1
  - .args:
      - .address_space:  global
        .offset:         0
        .size:           8
        .value_kind:     global_buffer
      - .address_space:  global
        .offset:         8
        .size:           8
        .value_kind:     global_buffer
    .group_segment_fixed_size: 1536
    .kernarg_segment_align: 8
    .kernarg_segment_size: 16
    .language:       OpenCL C
    .language_version:
      - 2
      - 0
    .max_flat_workgroup_size: 512
    .name:           _Z25blocked_to_striped_kernelIyyLj192ELj3EEvPT_PT0_
    .private_segment_fixed_size: 0
    .sgpr_count:     16
    .sgpr_spill_count: 0
    .symbol:         _Z25blocked_to_striped_kernelIyyLj192ELj3EEvPT_PT0_.kd
    .uniform_work_group_size: 1
    .uses_dynamic_stack: false
    .vgpr_count:     9
    .vgpr_spill_count: 0
    .wavefront_size: 32
    .workgroup_processor_mode: 1
  - .args:
      - .address_space:  global
        .offset:         0
        .size:           8
        .value_kind:     global_buffer
      - .address_space:  global
        .offset:         8
        .size:           8
        .value_kind:     global_buffer
    .group_segment_fixed_size: 1536
    .kernarg_segment_align: 8
    .kernarg_segment_size: 16
    .language:       OpenCL C
    .language_version:
      - 2
      - 0
    .max_flat_workgroup_size: 512
    .name:           _Z25blocked_to_striped_kernelIiiLj384ELj3EEvPT_PT0_
    .private_segment_fixed_size: 0
    .sgpr_count:     16
    .sgpr_spill_count: 0
    .symbol:         _Z25blocked_to_striped_kernelIiiLj384ELj3EEvPT_PT0_.kd
    .uniform_work_group_size: 1
    .uses_dynamic_stack: false
    .vgpr_count:     6
    .vgpr_spill_count: 0
    .wavefront_size: 32
    .workgroup_processor_mode: 1
  - .args:
      - .address_space:  global
        .offset:         0
        .size:           8
        .value_kind:     global_buffer
      - .address_space:  global
        .offset:         8
        .size:           8
        .value_kind:     global_buffer
    .group_segment_fixed_size: 1792
    .kernarg_segment_align: 8
    .kernarg_segment_size: 16
    .language:       OpenCL C
    .language_version:
      - 2
      - 0
    .max_flat_workgroup_size: 512
    .name:           _Z25blocked_to_striped_kernelIs5dummyIfELj896ELj7EEvPT_PT0_
    .private_segment_fixed_size: 0
    .sgpr_count:     16
    .sgpr_spill_count: 0
    .symbol:         _Z25blocked_to_striped_kernelIs5dummyIfELj896ELj7EEvPT_PT0_.kd
    .uniform_work_group_size: 1
    .uses_dynamic_stack: false
    .vgpr_count:     21
    .vgpr_spill_count: 0
    .wavefront_size: 32
    .workgroup_processor_mode: 1
  - .args:
      - .address_space:  global
        .offset:         0
        .size:           8
        .value_kind:     global_buffer
      - .address_space:  global
        .offset:         8
        .size:           8
        .value_kind:     global_buffer
    .group_segment_fixed_size: 10240
    .kernarg_segment_align: 8
    .kernarg_segment_size: 16
    .language:       OpenCL C
    .language_version:
      - 2
      - 0
    .max_flat_workgroup_size: 512
    .name:           _Z25blocked_to_striped_kernelIiiLj2560ELj5EEvPT_PT0_
    .private_segment_fixed_size: 0
    .sgpr_count:     16
    .sgpr_spill_count: 0
    .symbol:         _Z25blocked_to_striped_kernelIiiLj2560ELj5EEvPT_PT0_.kd
    .uniform_work_group_size: 1
    .uses_dynamic_stack: false
    .vgpr_count:     8
    .vgpr_spill_count: 0
    .wavefront_size: 32
    .workgroup_processor_mode: 1
  - .args:
      - .address_space:  global
        .offset:         0
        .size:           8
        .value_kind:     global_buffer
      - .address_space:  global
        .offset:         8
        .size:           8
        .value_kind:     global_buffer
    .group_segment_fixed_size: 8448
    .kernarg_segment_align: 8
    .kernarg_segment_size: 16
    .language:       OpenCL C
    .language_version:
      - 2
      - 0
    .max_flat_workgroup_size: 512
    .name:           _Z25blocked_to_striped_kernelIxxLj1024ELj4EEvPT_PT0_
    .private_segment_fixed_size: 0
    .sgpr_count:     16
    .sgpr_spill_count: 0
    .symbol:         _Z25blocked_to_striped_kernelIxxLj1024ELj4EEvPT_PT0_.kd
    .uniform_work_group_size: 1
    .uses_dynamic_stack: false
    .vgpr_count:     16
    .vgpr_spill_count: 0
    .wavefront_size: 32
    .workgroup_processor_mode: 1
  - .args:
      - .address_space:  global
        .offset:         0
        .size:           8
        .value_kind:     global_buffer
      - .address_space:  global
        .offset:         8
        .size:           8
        .value_kind:     global_buffer
    .group_segment_fixed_size: 528
    .kernarg_segment_align: 8
    .kernarg_segment_size: 16
    .language:       OpenCL C
    .language_version:
      - 2
      - 0
    .max_flat_workgroup_size: 512
    .name:           _Z25blocked_to_striped_kernelIiiLj128ELj2EEvPT_PT0_
    .private_segment_fixed_size: 0
    .sgpr_count:     16
    .sgpr_spill_count: 0
    .symbol:         _Z25blocked_to_striped_kernelIiiLj128ELj2EEvPT_PT0_.kd
    .uniform_work_group_size: 1
    .uses_dynamic_stack: false
    .vgpr_count:     8
    .vgpr_spill_count: 0
    .wavefront_size: 32
    .workgroup_processor_mode: 1
  - .args:
      - .address_space:  global
        .offset:         0
        .size:           8
        .value_kind:     global_buffer
      - .address_space:  global
        .offset:         8
        .size:           8
        .value_kind:     global_buffer
    .group_segment_fixed_size: 4096
    .kernarg_segment_align: 8
    .kernarg_segment_size: 16
    .language:       OpenCL C
    .language_version:
      - 2
      - 0
    .max_flat_workgroup_size: 512
    .name:           _Z25blocked_to_striped_kernelIxxLj512ELj1EEvPT_PT0_
    .private_segment_fixed_size: 0
    .sgpr_count:     16
    .sgpr_spill_count: 0
    .symbol:         _Z25blocked_to_striped_kernelIxxLj512ELj1EEvPT_PT0_.kd
    .uniform_work_group_size: 1
    .uses_dynamic_stack: false
    .vgpr_count:     3
    .vgpr_spill_count: 0
    .wavefront_size: 32
    .workgroup_processor_mode: 1
  - .args:
      - .address_space:  global
        .offset:         0
        .size:           8
        .value_kind:     global_buffer
      - .address_space:  global
        .offset:         8
        .size:           8
        .value_kind:     global_buffer
    .group_segment_fixed_size: 512
    .kernarg_segment_align: 8
    .kernarg_segment_size: 16
    .language:       OpenCL C
    .language_version:
      - 2
      - 0
    .max_flat_workgroup_size: 512
    .name:           _Z25blocked_to_striped_kernelIs5dummyIiELj256ELj1EEvPT_PT0_
    .private_segment_fixed_size: 0
    .sgpr_count:     16
    .sgpr_spill_count: 0
    .symbol:         _Z25blocked_to_striped_kernelIs5dummyIiELj256ELj1EEvPT_PT0_.kd
    .uniform_work_group_size: 1
    .uses_dynamic_stack: false
    .vgpr_count:     3
    .vgpr_spill_count: 0
    .wavefront_size: 32
    .workgroup_processor_mode: 1
  - .args:
      - .address_space:  global
        .offset:         0
        .size:           8
        .value_kind:     global_buffer
      - .address_space:  global
        .offset:         8
        .size:           8
        .value_kind:     global_buffer
    .group_segment_fixed_size: 1024
    .kernarg_segment_align: 8
    .kernarg_segment_size: 16
    .language:       OpenCL C
    .language_version:
      - 2
      - 0
    .max_flat_workgroup_size: 512
    .name:           _Z25blocked_to_striped_kernelIyyLj128ELj1EEvPT_PT0_
    .private_segment_fixed_size: 0
    .sgpr_count:     16
    .sgpr_spill_count: 0
    .symbol:         _Z25blocked_to_striped_kernelIyyLj128ELj1EEvPT_PT0_.kd
    .uniform_work_group_size: 1
    .uses_dynamic_stack: false
    .vgpr_count:     3
    .vgpr_spill_count: 0
    .wavefront_size: 32
    .workgroup_processor_mode: 1
  - .args:
      - .address_space:  global
        .offset:         0
        .size:           8
        .value_kind:     global_buffer
      - .address_space:  global
        .offset:         8
        .size:           8
        .value_kind:     global_buffer
    .group_segment_fixed_size: 256
    .kernarg_segment_align: 8
    .kernarg_segment_size: 16
    .language:       OpenCL C
    .language_version:
      - 2
      - 0
    .max_flat_workgroup_size: 512
    .name:           _Z25blocked_to_striped_kernelIixLj64ELj1EEvPT_PT0_
    .private_segment_fixed_size: 0
    .sgpr_count:     16
    .sgpr_spill_count: 0
    .symbol:         _Z25blocked_to_striped_kernelIixLj64ELj1EEvPT_PT0_.kd
    .uniform_work_group_size: 1
    .uses_dynamic_stack: false
    .vgpr_count:     3
    .vgpr_spill_count: 0
    .wavefront_size: 32
    .workgroup_processor_mode: 1
  - .args:
      - .address_space:  global
        .offset:         0
        .size:           8
        .value_kind:     global_buffer
      - .address_space:  global
        .offset:         8
        .size:           8
        .value_kind:     global_buffer
    .group_segment_fixed_size: 1056
    .kernarg_segment_align: 8
    .kernarg_segment_size: 16
    .language:       OpenCL C
    .language_version:
      - 2
      - 0
    .max_flat_workgroup_size: 512
    .name:           _Z25blocked_to_striped_kernelI6__halfS0_Lj512ELj4EEvPT_PT0_
    .private_segment_fixed_size: 0
    .sgpr_count:     16
    .sgpr_spill_count: 0
    .symbol:         _Z25blocked_to_striped_kernelI6__halfS0_Lj512ELj4EEvPT_PT0_.kd
    .uniform_work_group_size: 1
    .uses_dynamic_stack: false
    .vgpr_count:     9
    .vgpr_spill_count: 0
    .wavefront_size: 32
    .workgroup_processor_mode: 1
  - .args:
      - .address_space:  global
        .offset:         0
        .size:           8
        .value_kind:     global_buffer
      - .address_space:  global
        .offset:         8
        .size:           8
        .value_kind:     global_buffer
    .group_segment_fixed_size: 1056
    .kernarg_segment_align: 8
    .kernarg_segment_size: 16
    .language:       OpenCL C
    .language_version:
      - 2
      - 0
    .max_flat_workgroup_size: 512
    .name:           _Z25blocked_to_striped_kernelI12hip_bfloat16S0_Lj512ELj4EEvPT_PT0_
    .private_segment_fixed_size: 0
    .sgpr_count:     16
    .sgpr_spill_count: 0
    .symbol:         _Z25blocked_to_striped_kernelI12hip_bfloat16S0_Lj512ELj4EEvPT_PT0_.kd
    .uniform_work_group_size: 1
    .uses_dynamic_stack: false
    .vgpr_count:     9
    .vgpr_spill_count: 0
    .wavefront_size: 32
    .workgroup_processor_mode: 1
  - .args:
      - .address_space:  global
        .offset:         0
        .size:           8
        .value_kind:     global_buffer
      - .address_space:  global
        .offset:         8
        .size:           8
        .value_kind:     global_buffer
    .group_segment_fixed_size: 2112
    .kernarg_segment_align: 8
    .kernarg_segment_size: 16
    .language:       OpenCL C
    .language_version:
      - 2
      - 0
    .max_flat_workgroup_size: 512
    .name:           _Z25blocked_to_striped_kernelIfdLj512ELj4EEvPT_PT0_
    .private_segment_fixed_size: 0
    .sgpr_count:     16
    .sgpr_spill_count: 0
    .symbol:         _Z25blocked_to_striped_kernelIfdLj512ELj4EEvPT_PT0_.kd
    .uniform_work_group_size: 1
    .uses_dynamic_stack: false
    .vgpr_count:     11
    .vgpr_spill_count: 0
    .wavefront_size: 32
    .workgroup_processor_mode: 1
  - .args:
      - .address_space:  global
        .offset:         0
        .size:           8
        .value_kind:     global_buffer
      - .address_space:  global
        .offset:         8
        .size:           8
        .value_kind:     global_buffer
    .group_segment_fixed_size: 2112
    .kernarg_segment_align: 8
    .kernarg_segment_size: 16
    .language:       OpenCL C
    .language_version:
      - 2
      - 0
    .max_flat_workgroup_size: 512
    .name:           _Z25blocked_to_striped_kernelIiiLj512ELj4EEvPT_PT0_
    .private_segment_fixed_size: 0
    .sgpr_count:     16
    .sgpr_spill_count: 0
    .symbol:         _Z25blocked_to_striped_kernelIiiLj512ELj4EEvPT_PT0_.kd
    .uniform_work_group_size: 1
    .uses_dynamic_stack: false
    .vgpr_count:     12
    .vgpr_spill_count: 0
    .wavefront_size: 32
    .workgroup_processor_mode: 1
  - .args:
      - .address_space:  global
        .offset:         0
        .size:           8
        .value_kind:     global_buffer
      - .address_space:  global
        .offset:         8
        .size:           8
        .value_kind:     global_buffer
    .group_segment_fixed_size: 4224
    .kernarg_segment_align: 8
    .kernarg_segment_size: 16
    .language:       OpenCL C
    .language_version:
      - 2
      - 0
    .max_flat_workgroup_size: 512
    .name:           _Z25striped_to_blocked_kernelIsiLj2106ELj9EEvPT_PT0_
    .private_segment_fixed_size: 0
    .sgpr_count:     16
    .sgpr_spill_count: 0
    .symbol:         _Z25striped_to_blocked_kernelIsiLj2106ELj9EEvPT_PT0_.kd
    .uniform_work_group_size: 1
    .uses_dynamic_stack: false
    .vgpr_count:     10
    .vgpr_spill_count: 0
    .wavefront_size: 32
    .workgroup_processor_mode: 1
  - .args:
      - .address_space:  global
        .offset:         0
        .size:           8
        .value_kind:     global_buffer
      - .address_space:  global
        .offset:         8
        .size:           8
        .value_kind:     global_buffer
    .group_segment_fixed_size: 608
    .kernarg_segment_align: 8
    .kernarg_segment_size: 16
    .language:       OpenCL C
    .language_version:
      - 2
      - 0
    .max_flat_workgroup_size: 512
    .name:           _Z25striped_to_blocked_kernelItjLj300ELj3EEvPT_PT0_
    .private_segment_fixed_size: 0
    .sgpr_count:     16
    .sgpr_spill_count: 0
    .symbol:         _Z25striped_to_blocked_kernelItjLj300ELj3EEvPT_PT0_.kd
    .uniform_work_group_size: 1
    .uses_dynamic_stack: false
    .vgpr_count:     5
    .vgpr_spill_count: 0
    .wavefront_size: 32
    .workgroup_processor_mode: 1
  - .args:
      - .address_space:  global
        .offset:         0
        .size:           8
        .value_kind:     global_buffer
      - .address_space:  global
        .offset:         8
        .size:           8
        .value_kind:     global_buffer
    .group_segment_fixed_size: 960
    .kernarg_segment_align: 8
    .kernarg_segment_size: 16
    .language:       OpenCL C
    .language_version:
      - 2
      - 0
    .max_flat_workgroup_size: 512
    .name:           _Z25striped_to_blocked_kernelIc5dummyIdELj928ELj2EEvPT_PT0_
    .private_segment_fixed_size: 0
    .sgpr_count:     16
    .sgpr_spill_count: 0
    .symbol:         _Z25striped_to_blocked_kernelIc5dummyIdELj928ELj2EEvPT_PT0_.kd
    .uniform_work_group_size: 1
    .uses_dynamic_stack: false
    .vgpr_count:     9
    .vgpr_spill_count: 0
    .wavefront_size: 32
    .workgroup_processor_mode: 1
  - .args:
      - .address_space:  global
        .offset:         0
        .size:           8
        .value_kind:     global_buffer
      - .address_space:  global
        .offset:         8
        .size:           8
        .value_kind:     global_buffer
    .group_segment_fixed_size: 672
    .kernarg_segment_align: 8
    .kernarg_segment_size: 16
    .language:       OpenCL C
    .language_version:
      - 2
      - 0
    .max_flat_workgroup_size: 512
    .name:           _Z25striped_to_blocked_kernelIfiLj165ELj5EEvPT_PT0_
    .private_segment_fixed_size: 0
    .sgpr_count:     16
    .sgpr_spill_count: 0
    .symbol:         _Z25striped_to_blocked_kernelIfiLj165ELj5EEvPT_PT0_.kd
    .uniform_work_group_size: 1
    .uses_dynamic_stack: false
    .vgpr_count:     7
    .vgpr_spill_count: 0
    .wavefront_size: 32
    .workgroup_processor_mode: 1
  - .args:
      - .address_space:  global
        .offset:         0
        .size:           8
        .value_kind:     global_buffer
      - .address_space:  global
        .offset:         8
        .size:           8
        .value_kind:     global_buffer
    .group_segment_fixed_size: 672
    .kernarg_segment_align: 8
    .kernarg_segment_size: 16
    .language:       OpenCL C
    .language_version:
      - 2
      - 0
    .max_flat_workgroup_size: 512
    .name:           _Z25striped_to_blocked_kernelIidLj165ELj5EEvPT_PT0_
    .private_segment_fixed_size: 0
    .sgpr_count:     16
    .sgpr_spill_count: 0
    .symbol:         _Z25striped_to_blocked_kernelIidLj165ELj5EEvPT_PT0_.kd
    .uniform_work_group_size: 1
    .uses_dynamic_stack: false
    .vgpr_count:     11
    .vgpr_spill_count: 0
    .wavefront_size: 32
    .workgroup_processor_mode: 1
  - .args:
      - .address_space:  global
        .offset:         0
        .size:           8
        .value_kind:     global_buffer
      - .address_space:  global
        .offset:         8
        .size:           8
        .value_kind:     global_buffer
    .group_segment_fixed_size: 1536
    .kernarg_segment_align: 8
    .kernarg_segment_size: 16
    .language:       OpenCL C
    .language_version:
      - 2
      - 0
    .max_flat_workgroup_size: 512
    .name:           _Z25striped_to_blocked_kernelIyyLj192ELj3EEvPT_PT0_
    .private_segment_fixed_size: 0
    .sgpr_count:     16
    .sgpr_spill_count: 0
    .symbol:         _Z25striped_to_blocked_kernelIyyLj192ELj3EEvPT_PT0_.kd
    .uniform_work_group_size: 1
    .uses_dynamic_stack: false
    .vgpr_count:     8
    .vgpr_spill_count: 0
    .wavefront_size: 32
    .workgroup_processor_mode: 1
  - .args:
      - .address_space:  global
        .offset:         0
        .size:           8
        .value_kind:     global_buffer
      - .address_space:  global
        .offset:         8
        .size:           8
        .value_kind:     global_buffer
    .group_segment_fixed_size: 1536
    .kernarg_segment_align: 8
    .kernarg_segment_size: 16
    .language:       OpenCL C
    .language_version:
      - 2
      - 0
    .max_flat_workgroup_size: 512
    .name:           _Z25striped_to_blocked_kernelIiiLj384ELj3EEvPT_PT0_
    .private_segment_fixed_size: 0
    .sgpr_count:     16
    .sgpr_spill_count: 0
    .symbol:         _Z25striped_to_blocked_kernelIiiLj384ELj3EEvPT_PT0_.kd
    .uniform_work_group_size: 1
    .uses_dynamic_stack: false
    .vgpr_count:     5
    .vgpr_spill_count: 0
    .wavefront_size: 32
    .workgroup_processor_mode: 1
  - .args:
      - .address_space:  global
        .offset:         0
        .size:           8
        .value_kind:     global_buffer
      - .address_space:  global
        .offset:         8
        .size:           8
        .value_kind:     global_buffer
    .group_segment_fixed_size: 1792
    .kernarg_segment_align: 8
    .kernarg_segment_size: 16
    .language:       OpenCL C
    .language_version:
      - 2
      - 0
    .max_flat_workgroup_size: 512
    .name:           _Z25striped_to_blocked_kernelIs5dummyIfELj896ELj7EEvPT_PT0_
    .private_segment_fixed_size: 0
    .sgpr_count:     16
    .sgpr_spill_count: 0
    .symbol:         _Z25striped_to_blocked_kernelIs5dummyIfELj896ELj7EEvPT_PT0_.kd
    .uniform_work_group_size: 1
    .uses_dynamic_stack: false
    .vgpr_count:     21
    .vgpr_spill_count: 0
    .wavefront_size: 32
    .workgroup_processor_mode: 1
  - .args:
      - .address_space:  global
        .offset:         0
        .size:           8
        .value_kind:     global_buffer
      - .address_space:  global
        .offset:         8
        .size:           8
        .value_kind:     global_buffer
    .group_segment_fixed_size: 10240
    .kernarg_segment_align: 8
    .kernarg_segment_size: 16
    .language:       OpenCL C
    .language_version:
      - 2
      - 0
    .max_flat_workgroup_size: 512
    .name:           _Z25striped_to_blocked_kernelIiiLj2560ELj5EEvPT_PT0_
    .private_segment_fixed_size: 0
    .sgpr_count:     16
    .sgpr_spill_count: 0
    .symbol:         _Z25striped_to_blocked_kernelIiiLj2560ELj5EEvPT_PT0_.kd
    .uniform_work_group_size: 1
    .uses_dynamic_stack: false
    .vgpr_count:     7
    .vgpr_spill_count: 0
    .wavefront_size: 32
    .workgroup_processor_mode: 1
  - .args:
      - .address_space:  global
        .offset:         0
        .size:           8
        .value_kind:     global_buffer
      - .address_space:  global
        .offset:         8
        .size:           8
        .value_kind:     global_buffer
    .group_segment_fixed_size: 8448
    .kernarg_segment_align: 8
    .kernarg_segment_size: 16
    .language:       OpenCL C
    .language_version:
      - 2
      - 0
    .max_flat_workgroup_size: 512
    .name:           _Z25striped_to_blocked_kernelIxxLj1024ELj4EEvPT_PT0_
    .private_segment_fixed_size: 0
    .sgpr_count:     16
    .sgpr_spill_count: 0
    .symbol:         _Z25striped_to_blocked_kernelIxxLj1024ELj4EEvPT_PT0_.kd
    .uniform_work_group_size: 1
    .uses_dynamic_stack: false
    .vgpr_count:     16
    .vgpr_spill_count: 0
    .wavefront_size: 32
    .workgroup_processor_mode: 1
  - .args:
      - .address_space:  global
        .offset:         0
        .size:           8
        .value_kind:     global_buffer
      - .address_space:  global
        .offset:         8
        .size:           8
        .value_kind:     global_buffer
    .group_segment_fixed_size: 528
    .kernarg_segment_align: 8
    .kernarg_segment_size: 16
    .language:       OpenCL C
    .language_version:
      - 2
      - 0
    .max_flat_workgroup_size: 512
    .name:           _Z25striped_to_blocked_kernelIiiLj128ELj2EEvPT_PT0_
    .private_segment_fixed_size: 0
    .sgpr_count:     16
    .sgpr_spill_count: 0
    .symbol:         _Z25striped_to_blocked_kernelIiiLj128ELj2EEvPT_PT0_.kd
    .uniform_work_group_size: 1
    .uses_dynamic_stack: false
    .vgpr_count:     8
    .vgpr_spill_count: 0
    .wavefront_size: 32
    .workgroup_processor_mode: 1
  - .args:
      - .address_space:  global
        .offset:         0
        .size:           8
        .value_kind:     global_buffer
      - .address_space:  global
        .offset:         8
        .size:           8
        .value_kind:     global_buffer
    .group_segment_fixed_size: 4096
    .kernarg_segment_align: 8
    .kernarg_segment_size: 16
    .language:       OpenCL C
    .language_version:
      - 2
      - 0
    .max_flat_workgroup_size: 512
    .name:           _Z25striped_to_blocked_kernelIxxLj512ELj1EEvPT_PT0_
    .private_segment_fixed_size: 0
    .sgpr_count:     16
    .sgpr_spill_count: 0
    .symbol:         _Z25striped_to_blocked_kernelIxxLj512ELj1EEvPT_PT0_.kd
    .uniform_work_group_size: 1
    .uses_dynamic_stack: false
    .vgpr_count:     3
    .vgpr_spill_count: 0
    .wavefront_size: 32
    .workgroup_processor_mode: 1
  - .args:
      - .address_space:  global
        .offset:         0
        .size:           8
        .value_kind:     global_buffer
      - .address_space:  global
        .offset:         8
        .size:           8
        .value_kind:     global_buffer
    .group_segment_fixed_size: 512
    .kernarg_segment_align: 8
    .kernarg_segment_size: 16
    .language:       OpenCL C
    .language_version:
      - 2
      - 0
    .max_flat_workgroup_size: 512
    .name:           _Z25striped_to_blocked_kernelIs5dummyIiELj256ELj1EEvPT_PT0_
    .private_segment_fixed_size: 0
    .sgpr_count:     16
    .sgpr_spill_count: 0
    .symbol:         _Z25striped_to_blocked_kernelIs5dummyIiELj256ELj1EEvPT_PT0_.kd
    .uniform_work_group_size: 1
    .uses_dynamic_stack: false
    .vgpr_count:     3
    .vgpr_spill_count: 0
    .wavefront_size: 32
    .workgroup_processor_mode: 1
  - .args:
      - .address_space:  global
        .offset:         0
        .size:           8
        .value_kind:     global_buffer
      - .address_space:  global
        .offset:         8
        .size:           8
        .value_kind:     global_buffer
    .group_segment_fixed_size: 1024
    .kernarg_segment_align: 8
    .kernarg_segment_size: 16
    .language:       OpenCL C
    .language_version:
      - 2
      - 0
    .max_flat_workgroup_size: 512
    .name:           _Z25striped_to_blocked_kernelIyyLj128ELj1EEvPT_PT0_
    .private_segment_fixed_size: 0
    .sgpr_count:     16
    .sgpr_spill_count: 0
    .symbol:         _Z25striped_to_blocked_kernelIyyLj128ELj1EEvPT_PT0_.kd
    .uniform_work_group_size: 1
    .uses_dynamic_stack: false
    .vgpr_count:     3
    .vgpr_spill_count: 0
    .wavefront_size: 32
    .workgroup_processor_mode: 1
  - .args:
      - .address_space:  global
        .offset:         0
        .size:           8
        .value_kind:     global_buffer
      - .address_space:  global
        .offset:         8
        .size:           8
        .value_kind:     global_buffer
    .group_segment_fixed_size: 256
    .kernarg_segment_align: 8
    .kernarg_segment_size: 16
    .language:       OpenCL C
    .language_version:
      - 2
      - 0
    .max_flat_workgroup_size: 512
    .name:           _Z25striped_to_blocked_kernelIixLj64ELj1EEvPT_PT0_
    .private_segment_fixed_size: 0
    .sgpr_count:     16
    .sgpr_spill_count: 0
    .symbol:         _Z25striped_to_blocked_kernelIixLj64ELj1EEvPT_PT0_.kd
    .uniform_work_group_size: 1
    .uses_dynamic_stack: false
    .vgpr_count:     3
    .vgpr_spill_count: 0
    .wavefront_size: 32
    .workgroup_processor_mode: 1
  - .args:
      - .address_space:  global
        .offset:         0
        .size:           8
        .value_kind:     global_buffer
      - .address_space:  global
        .offset:         8
        .size:           8
        .value_kind:     global_buffer
    .group_segment_fixed_size: 1056
    .kernarg_segment_align: 8
    .kernarg_segment_size: 16
    .language:       OpenCL C
    .language_version:
      - 2
      - 0
    .max_flat_workgroup_size: 512
    .name:           _Z25striped_to_blocked_kernelI6__halfS0_Lj512ELj4EEvPT_PT0_
    .private_segment_fixed_size: 0
    .sgpr_count:     16
    .sgpr_spill_count: 0
    .symbol:         _Z25striped_to_blocked_kernelI6__halfS0_Lj512ELj4EEvPT_PT0_.kd
    .uniform_work_group_size: 1
    .uses_dynamic_stack: false
    .vgpr_count:     10
    .vgpr_spill_count: 0
    .wavefront_size: 32
    .workgroup_processor_mode: 1
  - .args:
      - .address_space:  global
        .offset:         0
        .size:           8
        .value_kind:     global_buffer
      - .address_space:  global
        .offset:         8
        .size:           8
        .value_kind:     global_buffer
    .group_segment_fixed_size: 1056
    .kernarg_segment_align: 8
    .kernarg_segment_size: 16
    .language:       OpenCL C
    .language_version:
      - 2
      - 0
    .max_flat_workgroup_size: 512
    .name:           _Z25striped_to_blocked_kernelI12hip_bfloat16S0_Lj512ELj4EEvPT_PT0_
    .private_segment_fixed_size: 0
    .sgpr_count:     16
    .sgpr_spill_count: 0
    .symbol:         _Z25striped_to_blocked_kernelI12hip_bfloat16S0_Lj512ELj4EEvPT_PT0_.kd
    .uniform_work_group_size: 1
    .uses_dynamic_stack: false
    .vgpr_count:     10
    .vgpr_spill_count: 0
    .wavefront_size: 32
    .workgroup_processor_mode: 1
  - .args:
      - .address_space:  global
        .offset:         0
        .size:           8
        .value_kind:     global_buffer
      - .address_space:  global
        .offset:         8
        .size:           8
        .value_kind:     global_buffer
    .group_segment_fixed_size: 2112
    .kernarg_segment_align: 8
    .kernarg_segment_size: 16
    .language:       OpenCL C
    .language_version:
      - 2
      - 0
    .max_flat_workgroup_size: 512
    .name:           _Z25striped_to_blocked_kernelIfdLj512ELj4EEvPT_PT0_
    .private_segment_fixed_size: 0
    .sgpr_count:     16
    .sgpr_spill_count: 0
    .symbol:         _Z25striped_to_blocked_kernelIfdLj512ELj4EEvPT_PT0_.kd
    .uniform_work_group_size: 1
    .uses_dynamic_stack: false
    .vgpr_count:     11
    .vgpr_spill_count: 0
    .wavefront_size: 32
    .workgroup_processor_mode: 1
  - .args:
      - .address_space:  global
        .offset:         0
        .size:           8
        .value_kind:     global_buffer
      - .address_space:  global
        .offset:         8
        .size:           8
        .value_kind:     global_buffer
    .group_segment_fixed_size: 2112
    .kernarg_segment_align: 8
    .kernarg_segment_size: 16
    .language:       OpenCL C
    .language_version:
      - 2
      - 0
    .max_flat_workgroup_size: 512
    .name:           _Z25striped_to_blocked_kernelIiiLj512ELj4EEvPT_PT0_
    .private_segment_fixed_size: 0
    .sgpr_count:     16
    .sgpr_spill_count: 0
    .symbol:         _Z25striped_to_blocked_kernelIiiLj512ELj4EEvPT_PT0_.kd
    .uniform_work_group_size: 1
    .uses_dynamic_stack: false
    .vgpr_count:     12
    .vgpr_spill_count: 0
    .wavefront_size: 32
    .workgroup_processor_mode: 1
  - .args:
      - .address_space:  global
        .offset:         0
        .size:           8
        .value_kind:     global_buffer
      - .address_space:  global
        .offset:         8
        .size:           8
        .value_kind:     global_buffer
    .group_segment_fixed_size: 4224
    .kernarg_segment_align: 8
    .kernarg_segment_size: 16
    .language:       OpenCL C
    .language_version:
      - 2
      - 0
    .max_flat_workgroup_size: 512
    .name:           _Z30blocked_to_warp_striped_kernelIsiLj2106ELj9EEvPT_PT0_
    .private_segment_fixed_size: 0
    .sgpr_count:     18
    .sgpr_spill_count: 0
    .symbol:         _Z30blocked_to_warp_striped_kernelIsiLj2106ELj9EEvPT_PT0_.kd
    .uniform_work_group_size: 1
    .uses_dynamic_stack: false
    .vgpr_count:     18
    .vgpr_spill_count: 0
    .wavefront_size: 32
    .workgroup_processor_mode: 1
  - .args:
      - .address_space:  global
        .offset:         0
        .size:           8
        .value_kind:     global_buffer
      - .address_space:  global
        .offset:         8
        .size:           8
        .value_kind:     global_buffer
    .group_segment_fixed_size: 608
    .kernarg_segment_align: 8
    .kernarg_segment_size: 16
    .language:       OpenCL C
    .language_version:
      - 2
      - 0
    .max_flat_workgroup_size: 512
    .name:           _Z30blocked_to_warp_striped_kernelItjLj300ELj3EEvPT_PT0_
    .private_segment_fixed_size: 0
    .sgpr_count:     18
    .sgpr_spill_count: 0
    .symbol:         _Z30blocked_to_warp_striped_kernelItjLj300ELj3EEvPT_PT0_.kd
    .uniform_work_group_size: 1
    .uses_dynamic_stack: false
    .vgpr_count:     8
    .vgpr_spill_count: 0
    .wavefront_size: 32
    .workgroup_processor_mode: 1
  - .args:
      - .address_space:  global
        .offset:         0
        .size:           8
        .value_kind:     global_buffer
      - .address_space:  global
        .offset:         8
        .size:           8
        .value_kind:     global_buffer
    .group_segment_fixed_size: 960
    .kernarg_segment_align: 8
    .kernarg_segment_size: 16
    .language:       OpenCL C
    .language_version:
      - 2
      - 0
    .max_flat_workgroup_size: 512
    .name:           _Z30blocked_to_warp_striped_kernelIc5dummyIdELj928ELj2EEvPT_PT0_
    .private_segment_fixed_size: 0
    .sgpr_count:     18
    .sgpr_spill_count: 0
    .symbol:         _Z30blocked_to_warp_striped_kernelIc5dummyIdELj928ELj2EEvPT_PT0_.kd
    .uniform_work_group_size: 1
    .uses_dynamic_stack: false
    .vgpr_count:     9
    .vgpr_spill_count: 0
    .wavefront_size: 32
    .workgroup_processor_mode: 1
  - .args:
      - .address_space:  global
        .offset:         0
        .size:           8
        .value_kind:     global_buffer
      - .address_space:  global
        .offset:         8
        .size:           8
        .value_kind:     global_buffer
    .group_segment_fixed_size: 672
    .kernarg_segment_align: 8
    .kernarg_segment_size: 16
    .language:       OpenCL C
    .language_version:
      - 2
      - 0
    .max_flat_workgroup_size: 512
    .name:           _Z30blocked_to_warp_striped_kernelIfiLj165ELj5EEvPT_PT0_
    .private_segment_fixed_size: 0
    .sgpr_count:     18
    .sgpr_spill_count: 0
    .symbol:         _Z30blocked_to_warp_striped_kernelIfiLj165ELj5EEvPT_PT0_.kd
    .uniform_work_group_size: 1
    .uses_dynamic_stack: false
    .vgpr_count:     13
    .vgpr_spill_count: 0
    .wavefront_size: 32
    .workgroup_processor_mode: 1
  - .args:
      - .address_space:  global
        .offset:         0
        .size:           8
        .value_kind:     global_buffer
      - .address_space:  global
        .offset:         8
        .size:           8
        .value_kind:     global_buffer
    .group_segment_fixed_size: 672
    .kernarg_segment_align: 8
    .kernarg_segment_size: 16
    .language:       OpenCL C
    .language_version:
      - 2
      - 0
    .max_flat_workgroup_size: 512
    .name:           _Z30blocked_to_warp_striped_kernelIidLj165ELj5EEvPT_PT0_
    .private_segment_fixed_size: 0
    .sgpr_count:     18
    .sgpr_spill_count: 0
    .symbol:         _Z30blocked_to_warp_striped_kernelIidLj165ELj5EEvPT_PT0_.kd
    .uniform_work_group_size: 1
    .uses_dynamic_stack: false
    .vgpr_count:     13
    .vgpr_spill_count: 0
    .wavefront_size: 32
    .workgroup_processor_mode: 1
  - .args:
      - .address_space:  global
        .offset:         0
        .size:           8
        .value_kind:     global_buffer
      - .address_space:  global
        .offset:         8
        .size:           8
        .value_kind:     global_buffer
    .group_segment_fixed_size: 1536
    .kernarg_segment_align: 8
    .kernarg_segment_size: 16
    .language:       OpenCL C
    .language_version:
      - 2
      - 0
    .max_flat_workgroup_size: 512
    .name:           _Z30blocked_to_warp_striped_kernelIyyLj192ELj3EEvPT_PT0_
    .private_segment_fixed_size: 0
    .sgpr_count:     16
    .sgpr_spill_count: 0
    .symbol:         _Z30blocked_to_warp_striped_kernelIyyLj192ELj3EEvPT_PT0_.kd
    .uniform_work_group_size: 1
    .uses_dynamic_stack: false
    .vgpr_count:     10
    .vgpr_spill_count: 0
    .wavefront_size: 32
    .workgroup_processor_mode: 1
  - .args:
      - .address_space:  global
        .offset:         0
        .size:           8
        .value_kind:     global_buffer
      - .address_space:  global
        .offset:         8
        .size:           8
        .value_kind:     global_buffer
    .group_segment_fixed_size: 1536
    .kernarg_segment_align: 8
    .kernarg_segment_size: 16
    .language:       OpenCL C
    .language_version:
      - 2
      - 0
    .max_flat_workgroup_size: 512
    .name:           _Z30blocked_to_warp_striped_kernelIiiLj384ELj3EEvPT_PT0_
    .private_segment_fixed_size: 0
    .sgpr_count:     16
    .sgpr_spill_count: 0
    .symbol:         _Z30blocked_to_warp_striped_kernelIiiLj384ELj3EEvPT_PT0_.kd
    .uniform_work_group_size: 1
    .uses_dynamic_stack: false
    .vgpr_count:     7
    .vgpr_spill_count: 0
    .wavefront_size: 32
    .workgroup_processor_mode: 1
  - .args:
      - .address_space:  global
        .offset:         0
        .size:           8
        .value_kind:     global_buffer
      - .address_space:  global
        .offset:         8
        .size:           8
        .value_kind:     global_buffer
    .group_segment_fixed_size: 1792
    .kernarg_segment_align: 8
    .kernarg_segment_size: 16
    .language:       OpenCL C
    .language_version:
      - 2
      - 0
    .max_flat_workgroup_size: 512
    .name:           _Z30blocked_to_warp_striped_kernelIs5dummyIfELj896ELj7EEvPT_PT0_
    .private_segment_fixed_size: 0
    .sgpr_count:     16
    .sgpr_spill_count: 0
    .symbol:         _Z30blocked_to_warp_striped_kernelIs5dummyIfELj896ELj7EEvPT_PT0_.kd
    .uniform_work_group_size: 1
    .uses_dynamic_stack: false
    .vgpr_count:     22
    .vgpr_spill_count: 0
    .wavefront_size: 32
    .workgroup_processor_mode: 1
  - .args:
      - .address_space:  global
        .offset:         0
        .size:           8
        .value_kind:     global_buffer
      - .address_space:  global
        .offset:         8
        .size:           8
        .value_kind:     global_buffer
    .group_segment_fixed_size: 10240
    .kernarg_segment_align: 8
    .kernarg_segment_size: 16
    .language:       OpenCL C
    .language_version:
      - 2
      - 0
    .max_flat_workgroup_size: 512
    .name:           _Z30blocked_to_warp_striped_kernelIiiLj2560ELj5EEvPT_PT0_
    .private_segment_fixed_size: 0
    .sgpr_count:     16
    .sgpr_spill_count: 0
    .symbol:         _Z30blocked_to_warp_striped_kernelIiiLj2560ELj5EEvPT_PT0_.kd
    .uniform_work_group_size: 1
    .uses_dynamic_stack: false
    .vgpr_count:     9
    .vgpr_spill_count: 0
    .wavefront_size: 32
    .workgroup_processor_mode: 1
  - .args:
      - .address_space:  global
        .offset:         0
        .size:           8
        .value_kind:     global_buffer
      - .address_space:  global
        .offset:         8
        .size:           8
        .value_kind:     global_buffer
    .group_segment_fixed_size: 8448
    .kernarg_segment_align: 8
    .kernarg_segment_size: 16
    .language:       OpenCL C
    .language_version:
      - 2
      - 0
    .max_flat_workgroup_size: 512
    .name:           _Z30blocked_to_warp_striped_kernelIxxLj1024ELj4EEvPT_PT0_
    .private_segment_fixed_size: 0
    .sgpr_count:     16
    .sgpr_spill_count: 0
    .symbol:         _Z30blocked_to_warp_striped_kernelIxxLj1024ELj4EEvPT_PT0_.kd
    .uniform_work_group_size: 1
    .uses_dynamic_stack: false
    .vgpr_count:     19
    .vgpr_spill_count: 0
    .wavefront_size: 32
    .workgroup_processor_mode: 1
  - .args:
      - .address_space:  global
        .offset:         0
        .size:           8
        .value_kind:     global_buffer
      - .address_space:  global
        .offset:         8
        .size:           8
        .value_kind:     global_buffer
    .group_segment_fixed_size: 528
    .kernarg_segment_align: 8
    .kernarg_segment_size: 16
    .language:       OpenCL C
    .language_version:
      - 2
      - 0
    .max_flat_workgroup_size: 512
    .name:           _Z30blocked_to_warp_striped_kernelIiiLj128ELj2EEvPT_PT0_
    .private_segment_fixed_size: 0
    .sgpr_count:     16
    .sgpr_spill_count: 0
    .symbol:         _Z30blocked_to_warp_striped_kernelIiiLj128ELj2EEvPT_PT0_.kd
    .uniform_work_group_size: 1
    .uses_dynamic_stack: false
    .vgpr_count:     9
    .vgpr_spill_count: 0
    .wavefront_size: 32
    .workgroup_processor_mode: 1
  - .args:
      - .address_space:  global
        .offset:         0
        .size:           8
        .value_kind:     global_buffer
      - .address_space:  global
        .offset:         8
        .size:           8
        .value_kind:     global_buffer
    .group_segment_fixed_size: 4096
    .kernarg_segment_align: 8
    .kernarg_segment_size: 16
    .language:       OpenCL C
    .language_version:
      - 2
      - 0
    .max_flat_workgroup_size: 512
    .name:           _Z30blocked_to_warp_striped_kernelIxxLj512ELj1EEvPT_PT0_
    .private_segment_fixed_size: 0
    .sgpr_count:     16
    .sgpr_spill_count: 0
    .symbol:         _Z30blocked_to_warp_striped_kernelIxxLj512ELj1EEvPT_PT0_.kd
    .uniform_work_group_size: 1
    .uses_dynamic_stack: false
    .vgpr_count:     5
    .vgpr_spill_count: 0
    .wavefront_size: 32
    .workgroup_processor_mode: 1
  - .args:
      - .address_space:  global
        .offset:         0
        .size:           8
        .value_kind:     global_buffer
      - .address_space:  global
        .offset:         8
        .size:           8
        .value_kind:     global_buffer
    .group_segment_fixed_size: 512
    .kernarg_segment_align: 8
    .kernarg_segment_size: 16
    .language:       OpenCL C
    .language_version:
      - 2
      - 0
    .max_flat_workgroup_size: 512
    .name:           _Z30blocked_to_warp_striped_kernelIs5dummyIiELj256ELj1EEvPT_PT0_
    .private_segment_fixed_size: 0
    .sgpr_count:     16
    .sgpr_spill_count: 0
    .symbol:         _Z30blocked_to_warp_striped_kernelIs5dummyIiELj256ELj1EEvPT_PT0_.kd
    .uniform_work_group_size: 1
    .uses_dynamic_stack: false
    .vgpr_count:     3
    .vgpr_spill_count: 0
    .wavefront_size: 32
    .workgroup_processor_mode: 1
  - .args:
      - .address_space:  global
        .offset:         0
        .size:           8
        .value_kind:     global_buffer
      - .address_space:  global
        .offset:         8
        .size:           8
        .value_kind:     global_buffer
    .group_segment_fixed_size: 1024
    .kernarg_segment_align: 8
    .kernarg_segment_size: 16
    .language:       OpenCL C
    .language_version:
      - 2
      - 0
    .max_flat_workgroup_size: 512
    .name:           _Z30blocked_to_warp_striped_kernelIyyLj128ELj1EEvPT_PT0_
    .private_segment_fixed_size: 0
    .sgpr_count:     16
    .sgpr_spill_count: 0
    .symbol:         _Z30blocked_to_warp_striped_kernelIyyLj128ELj1EEvPT_PT0_.kd
    .uniform_work_group_size: 1
    .uses_dynamic_stack: false
    .vgpr_count:     5
    .vgpr_spill_count: 0
    .wavefront_size: 32
    .workgroup_processor_mode: 1
  - .args:
      - .address_space:  global
        .offset:         0
        .size:           8
        .value_kind:     global_buffer
      - .address_space:  global
        .offset:         8
        .size:           8
        .value_kind:     global_buffer
    .group_segment_fixed_size: 256
    .kernarg_segment_align: 8
    .kernarg_segment_size: 16
    .language:       OpenCL C
    .language_version:
      - 2
      - 0
    .max_flat_workgroup_size: 512
    .name:           _Z30blocked_to_warp_striped_kernelIixLj64ELj1EEvPT_PT0_
    .private_segment_fixed_size: 0
    .sgpr_count:     16
    .sgpr_spill_count: 0
    .symbol:         _Z30blocked_to_warp_striped_kernelIixLj64ELj1EEvPT_PT0_.kd
    .uniform_work_group_size: 1
    .uses_dynamic_stack: false
    .vgpr_count:     3
    .vgpr_spill_count: 0
    .wavefront_size: 32
    .workgroup_processor_mode: 1
  - .args:
      - .address_space:  global
        .offset:         0
        .size:           8
        .value_kind:     global_buffer
      - .address_space:  global
        .offset:         8
        .size:           8
        .value_kind:     global_buffer
    .group_segment_fixed_size: 1056
    .kernarg_segment_align: 8
    .kernarg_segment_size: 16
    .language:       OpenCL C
    .language_version:
      - 2
      - 0
    .max_flat_workgroup_size: 512
    .name:           _Z30blocked_to_warp_striped_kernelI6__halfS0_Lj512ELj4EEvPT_PT0_
    .private_segment_fixed_size: 0
    .sgpr_count:     16
    .sgpr_spill_count: 0
    .symbol:         _Z30blocked_to_warp_striped_kernelI6__halfS0_Lj512ELj4EEvPT_PT0_.kd
    .uniform_work_group_size: 1
    .uses_dynamic_stack: false
    .vgpr_count:     9
    .vgpr_spill_count: 0
    .wavefront_size: 32
    .workgroup_processor_mode: 1
  - .args:
      - .address_space:  global
        .offset:         0
        .size:           8
        .value_kind:     global_buffer
      - .address_space:  global
        .offset:         8
        .size:           8
        .value_kind:     global_buffer
    .group_segment_fixed_size: 1056
    .kernarg_segment_align: 8
    .kernarg_segment_size: 16
    .language:       OpenCL C
    .language_version:
      - 2
      - 0
    .max_flat_workgroup_size: 512
    .name:           _Z30blocked_to_warp_striped_kernelI12hip_bfloat16S0_Lj512ELj4EEvPT_PT0_
    .private_segment_fixed_size: 0
    .sgpr_count:     16
    .sgpr_spill_count: 0
    .symbol:         _Z30blocked_to_warp_striped_kernelI12hip_bfloat16S0_Lj512ELj4EEvPT_PT0_.kd
    .uniform_work_group_size: 1
    .uses_dynamic_stack: false
    .vgpr_count:     9
    .vgpr_spill_count: 0
    .wavefront_size: 32
    .workgroup_processor_mode: 1
  - .args:
      - .address_space:  global
        .offset:         0
        .size:           8
        .value_kind:     global_buffer
      - .address_space:  global
        .offset:         8
        .size:           8
        .value_kind:     global_buffer
    .group_segment_fixed_size: 2112
    .kernarg_segment_align: 8
    .kernarg_segment_size: 16
    .language:       OpenCL C
    .language_version:
      - 2
      - 0
    .max_flat_workgroup_size: 512
    .name:           _Z30blocked_to_warp_striped_kernelIfdLj512ELj4EEvPT_PT0_
    .private_segment_fixed_size: 0
    .sgpr_count:     16
    .sgpr_spill_count: 0
    .symbol:         _Z30blocked_to_warp_striped_kernelIfdLj512ELj4EEvPT_PT0_.kd
    .uniform_work_group_size: 1
    .uses_dynamic_stack: false
    .vgpr_count:     15
    .vgpr_spill_count: 0
    .wavefront_size: 32
    .workgroup_processor_mode: 1
  - .args:
      - .address_space:  global
        .offset:         0
        .size:           8
        .value_kind:     global_buffer
      - .address_space:  global
        .offset:         8
        .size:           8
        .value_kind:     global_buffer
    .group_segment_fixed_size: 2112
    .kernarg_segment_align: 8
    .kernarg_segment_size: 16
    .language:       OpenCL C
    .language_version:
      - 2
      - 0
    .max_flat_workgroup_size: 512
    .name:           _Z30blocked_to_warp_striped_kernelIiiLj512ELj4EEvPT_PT0_
    .private_segment_fixed_size: 0
    .sgpr_count:     16
    .sgpr_spill_count: 0
    .symbol:         _Z30blocked_to_warp_striped_kernelIiiLj512ELj4EEvPT_PT0_.kd
    .uniform_work_group_size: 1
    .uses_dynamic_stack: false
    .vgpr_count:     15
    .vgpr_spill_count: 0
    .wavefront_size: 32
    .workgroup_processor_mode: 1
  - .args:
      - .address_space:  global
        .offset:         0
        .size:           8
        .value_kind:     global_buffer
      - .address_space:  global
        .offset:         8
        .size:           8
        .value_kind:     global_buffer
    .group_segment_fixed_size: 4224
    .kernarg_segment_align: 8
    .kernarg_segment_size: 16
    .language:       OpenCL C
    .language_version:
      - 2
      - 0
    .max_flat_workgroup_size: 512
    .name:           _Z30warp_striped_to_blocked_kernelIsiLj2106ELj9EEvPT_PT0_
    .private_segment_fixed_size: 0
    .sgpr_count:     18
    .sgpr_spill_count: 0
    .symbol:         _Z30warp_striped_to_blocked_kernelIsiLj2106ELj9EEvPT_PT0_.kd
    .uniform_work_group_size: 1
    .uses_dynamic_stack: false
    .vgpr_count:     16
    .vgpr_spill_count: 0
    .wavefront_size: 32
    .workgroup_processor_mode: 1
  - .args:
      - .address_space:  global
        .offset:         0
        .size:           8
        .value_kind:     global_buffer
      - .address_space:  global
        .offset:         8
        .size:           8
        .value_kind:     global_buffer
    .group_segment_fixed_size: 608
    .kernarg_segment_align: 8
    .kernarg_segment_size: 16
    .language:       OpenCL C
    .language_version:
      - 2
      - 0
    .max_flat_workgroup_size: 512
    .name:           _Z30warp_striped_to_blocked_kernelItjLj300ELj3EEvPT_PT0_
    .private_segment_fixed_size: 0
    .sgpr_count:     18
    .sgpr_spill_count: 0
    .symbol:         _Z30warp_striped_to_blocked_kernelItjLj300ELj3EEvPT_PT0_.kd
    .uniform_work_group_size: 1
    .uses_dynamic_stack: false
    .vgpr_count:     7
    .vgpr_spill_count: 0
    .wavefront_size: 32
    .workgroup_processor_mode: 1
  - .args:
      - .address_space:  global
        .offset:         0
        .size:           8
        .value_kind:     global_buffer
      - .address_space:  global
        .offset:         8
        .size:           8
        .value_kind:     global_buffer
    .group_segment_fixed_size: 960
    .kernarg_segment_align: 8
    .kernarg_segment_size: 16
    .language:       OpenCL C
    .language_version:
      - 2
      - 0
    .max_flat_workgroup_size: 512
    .name:           _Z30warp_striped_to_blocked_kernelIc5dummyIdELj928ELj2EEvPT_PT0_
    .private_segment_fixed_size: 0
    .sgpr_count:     18
    .sgpr_spill_count: 0
    .symbol:         _Z30warp_striped_to_blocked_kernelIc5dummyIdELj928ELj2EEvPT_PT0_.kd
    .uniform_work_group_size: 1
    .uses_dynamic_stack: false
    .vgpr_count:     9
    .vgpr_spill_count: 0
    .wavefront_size: 32
    .workgroup_processor_mode: 1
  - .args:
      - .address_space:  global
        .offset:         0
        .size:           8
        .value_kind:     global_buffer
      - .address_space:  global
        .offset:         8
        .size:           8
        .value_kind:     global_buffer
    .group_segment_fixed_size: 672
    .kernarg_segment_align: 8
    .kernarg_segment_size: 16
    .language:       OpenCL C
    .language_version:
      - 2
      - 0
    .max_flat_workgroup_size: 512
    .name:           _Z30warp_striped_to_blocked_kernelIfiLj165ELj5EEvPT_PT0_
    .private_segment_fixed_size: 0
    .sgpr_count:     18
    .sgpr_spill_count: 0
    .symbol:         _Z30warp_striped_to_blocked_kernelIfiLj165ELj5EEvPT_PT0_.kd
    .uniform_work_group_size: 1
    .uses_dynamic_stack: false
    .vgpr_count:     12
    .vgpr_spill_count: 0
    .wavefront_size: 32
    .workgroup_processor_mode: 1
  - .args:
      - .address_space:  global
        .offset:         0
        .size:           8
        .value_kind:     global_buffer
      - .address_space:  global
        .offset:         8
        .size:           8
        .value_kind:     global_buffer
    .group_segment_fixed_size: 672
    .kernarg_segment_align: 8
    .kernarg_segment_size: 16
    .language:       OpenCL C
    .language_version:
      - 2
      - 0
    .max_flat_workgroup_size: 512
    .name:           _Z30warp_striped_to_blocked_kernelIidLj165ELj5EEvPT_PT0_
    .private_segment_fixed_size: 0
    .sgpr_count:     18
    .sgpr_spill_count: 0
    .symbol:         _Z30warp_striped_to_blocked_kernelIidLj165ELj5EEvPT_PT0_.kd
    .uniform_work_group_size: 1
    .uses_dynamic_stack: false
    .vgpr_count:     12
    .vgpr_spill_count: 0
    .wavefront_size: 32
    .workgroup_processor_mode: 1
  - .args:
      - .address_space:  global
        .offset:         0
        .size:           8
        .value_kind:     global_buffer
      - .address_space:  global
        .offset:         8
        .size:           8
        .value_kind:     global_buffer
    .group_segment_fixed_size: 1536
    .kernarg_segment_align: 8
    .kernarg_segment_size: 16
    .language:       OpenCL C
    .language_version:
      - 2
      - 0
    .max_flat_workgroup_size: 512
    .name:           _Z30warp_striped_to_blocked_kernelIyyLj192ELj3EEvPT_PT0_
    .private_segment_fixed_size: 0
    .sgpr_count:     16
    .sgpr_spill_count: 0
    .symbol:         _Z30warp_striped_to_blocked_kernelIyyLj192ELj3EEvPT_PT0_.kd
    .uniform_work_group_size: 1
    .uses_dynamic_stack: false
    .vgpr_count:     9
    .vgpr_spill_count: 0
    .wavefront_size: 32
    .workgroup_processor_mode: 1
  - .args:
      - .address_space:  global
        .offset:         0
        .size:           8
        .value_kind:     global_buffer
      - .address_space:  global
        .offset:         8
        .size:           8
        .value_kind:     global_buffer
    .group_segment_fixed_size: 1536
    .kernarg_segment_align: 8
    .kernarg_segment_size: 16
    .language:       OpenCL C
    .language_version:
      - 2
      - 0
    .max_flat_workgroup_size: 512
    .name:           _Z30warp_striped_to_blocked_kernelIiiLj384ELj3EEvPT_PT0_
    .private_segment_fixed_size: 0
    .sgpr_count:     16
    .sgpr_spill_count: 0
    .symbol:         _Z30warp_striped_to_blocked_kernelIiiLj384ELj3EEvPT_PT0_.kd
    .uniform_work_group_size: 1
    .uses_dynamic_stack: false
    .vgpr_count:     6
    .vgpr_spill_count: 0
    .wavefront_size: 32
    .workgroup_processor_mode: 1
  - .args:
      - .address_space:  global
        .offset:         0
        .size:           8
        .value_kind:     global_buffer
      - .address_space:  global
        .offset:         8
        .size:           8
        .value_kind:     global_buffer
    .group_segment_fixed_size: 1792
    .kernarg_segment_align: 8
    .kernarg_segment_size: 16
    .language:       OpenCL C
    .language_version:
      - 2
      - 0
    .max_flat_workgroup_size: 512
    .name:           _Z30warp_striped_to_blocked_kernelIs5dummyIfELj896ELj7EEvPT_PT0_
    .private_segment_fixed_size: 0
    .sgpr_count:     16
    .sgpr_spill_count: 0
    .symbol:         _Z30warp_striped_to_blocked_kernelIs5dummyIfELj896ELj7EEvPT_PT0_.kd
    .uniform_work_group_size: 1
    .uses_dynamic_stack: false
    .vgpr_count:     21
    .vgpr_spill_count: 0
    .wavefront_size: 32
    .workgroup_processor_mode: 1
  - .args:
      - .address_space:  global
        .offset:         0
        .size:           8
        .value_kind:     global_buffer
      - .address_space:  global
        .offset:         8
        .size:           8
        .value_kind:     global_buffer
    .group_segment_fixed_size: 10240
    .kernarg_segment_align: 8
    .kernarg_segment_size: 16
    .language:       OpenCL C
    .language_version:
      - 2
      - 0
    .max_flat_workgroup_size: 512
    .name:           _Z30warp_striped_to_blocked_kernelIiiLj2560ELj5EEvPT_PT0_
    .private_segment_fixed_size: 0
    .sgpr_count:     16
    .sgpr_spill_count: 0
    .symbol:         _Z30warp_striped_to_blocked_kernelIiiLj2560ELj5EEvPT_PT0_.kd
    .uniform_work_group_size: 1
    .uses_dynamic_stack: false
    .vgpr_count:     8
    .vgpr_spill_count: 0
    .wavefront_size: 32
    .workgroup_processor_mode: 1
  - .args:
      - .address_space:  global
        .offset:         0
        .size:           8
        .value_kind:     global_buffer
      - .address_space:  global
        .offset:         8
        .size:           8
        .value_kind:     global_buffer
    .group_segment_fixed_size: 8448
    .kernarg_segment_align: 8
    .kernarg_segment_size: 16
    .language:       OpenCL C
    .language_version:
      - 2
      - 0
    .max_flat_workgroup_size: 512
    .name:           _Z30warp_striped_to_blocked_kernelIxxLj1024ELj4EEvPT_PT0_
    .private_segment_fixed_size: 0
    .sgpr_count:     16
    .sgpr_spill_count: 0
    .symbol:         _Z30warp_striped_to_blocked_kernelIxxLj1024ELj4EEvPT_PT0_.kd
    .uniform_work_group_size: 1
    .uses_dynamic_stack: false
    .vgpr_count:     19
    .vgpr_spill_count: 0
    .wavefront_size: 32
    .workgroup_processor_mode: 1
  - .args:
      - .address_space:  global
        .offset:         0
        .size:           8
        .value_kind:     global_buffer
      - .address_space:  global
        .offset:         8
        .size:           8
        .value_kind:     global_buffer
    .group_segment_fixed_size: 528
    .kernarg_segment_align: 8
    .kernarg_segment_size: 16
    .language:       OpenCL C
    .language_version:
      - 2
      - 0
    .max_flat_workgroup_size: 512
    .name:           _Z30warp_striped_to_blocked_kernelIiiLj128ELj2EEvPT_PT0_
    .private_segment_fixed_size: 0
    .sgpr_count:     16
    .sgpr_spill_count: 0
    .symbol:         _Z30warp_striped_to_blocked_kernelIiiLj128ELj2EEvPT_PT0_.kd
    .uniform_work_group_size: 1
    .uses_dynamic_stack: false
    .vgpr_count:     9
    .vgpr_spill_count: 0
    .wavefront_size: 32
    .workgroup_processor_mode: 1
  - .args:
      - .address_space:  global
        .offset:         0
        .size:           8
        .value_kind:     global_buffer
      - .address_space:  global
        .offset:         8
        .size:           8
        .value_kind:     global_buffer
    .group_segment_fixed_size: 4096
    .kernarg_segment_align: 8
    .kernarg_segment_size: 16
    .language:       OpenCL C
    .language_version:
      - 2
      - 0
    .max_flat_workgroup_size: 512
    .name:           _Z30warp_striped_to_blocked_kernelIxxLj512ELj1EEvPT_PT0_
    .private_segment_fixed_size: 0
    .sgpr_count:     16
    .sgpr_spill_count: 0
    .symbol:         _Z30warp_striped_to_blocked_kernelIxxLj512ELj1EEvPT_PT0_.kd
    .uniform_work_group_size: 1
    .uses_dynamic_stack: false
    .vgpr_count:     5
    .vgpr_spill_count: 0
    .wavefront_size: 32
    .workgroup_processor_mode: 1
  - .args:
      - .address_space:  global
        .offset:         0
        .size:           8
        .value_kind:     global_buffer
      - .address_space:  global
        .offset:         8
        .size:           8
        .value_kind:     global_buffer
    .group_segment_fixed_size: 512
    .kernarg_segment_align: 8
    .kernarg_segment_size: 16
    .language:       OpenCL C
    .language_version:
      - 2
      - 0
    .max_flat_workgroup_size: 512
    .name:           _Z30warp_striped_to_blocked_kernelIs5dummyIiELj256ELj1EEvPT_PT0_
    .private_segment_fixed_size: 0
    .sgpr_count:     16
    .sgpr_spill_count: 0
    .symbol:         _Z30warp_striped_to_blocked_kernelIs5dummyIiELj256ELj1EEvPT_PT0_.kd
    .uniform_work_group_size: 1
    .uses_dynamic_stack: false
    .vgpr_count:     3
    .vgpr_spill_count: 0
    .wavefront_size: 32
    .workgroup_processor_mode: 1
  - .args:
      - .address_space:  global
        .offset:         0
        .size:           8
        .value_kind:     global_buffer
      - .address_space:  global
        .offset:         8
        .size:           8
        .value_kind:     global_buffer
    .group_segment_fixed_size: 1024
    .kernarg_segment_align: 8
    .kernarg_segment_size: 16
    .language:       OpenCL C
    .language_version:
      - 2
      - 0
    .max_flat_workgroup_size: 512
    .name:           _Z30warp_striped_to_blocked_kernelIyyLj128ELj1EEvPT_PT0_
    .private_segment_fixed_size: 0
    .sgpr_count:     16
    .sgpr_spill_count: 0
    .symbol:         _Z30warp_striped_to_blocked_kernelIyyLj128ELj1EEvPT_PT0_.kd
    .uniform_work_group_size: 1
    .uses_dynamic_stack: false
    .vgpr_count:     5
    .vgpr_spill_count: 0
    .wavefront_size: 32
    .workgroup_processor_mode: 1
  - .args:
      - .address_space:  global
        .offset:         0
        .size:           8
        .value_kind:     global_buffer
      - .address_space:  global
        .offset:         8
        .size:           8
        .value_kind:     global_buffer
    .group_segment_fixed_size: 256
    .kernarg_segment_align: 8
    .kernarg_segment_size: 16
    .language:       OpenCL C
    .language_version:
      - 2
      - 0
    .max_flat_workgroup_size: 512
    .name:           _Z30warp_striped_to_blocked_kernelIixLj64ELj1EEvPT_PT0_
    .private_segment_fixed_size: 0
    .sgpr_count:     16
    .sgpr_spill_count: 0
    .symbol:         _Z30warp_striped_to_blocked_kernelIixLj64ELj1EEvPT_PT0_.kd
    .uniform_work_group_size: 1
    .uses_dynamic_stack: false
    .vgpr_count:     3
    .vgpr_spill_count: 0
    .wavefront_size: 32
    .workgroup_processor_mode: 1
  - .args:
      - .address_space:  global
        .offset:         0
        .size:           8
        .value_kind:     global_buffer
      - .address_space:  global
        .offset:         8
        .size:           8
        .value_kind:     global_buffer
    .group_segment_fixed_size: 1056
    .kernarg_segment_align: 8
    .kernarg_segment_size: 16
    .language:       OpenCL C
    .language_version:
      - 2
      - 0
    .max_flat_workgroup_size: 512
    .name:           _Z30warp_striped_to_blocked_kernelI6__halfS0_Lj512ELj4EEvPT_PT0_
    .private_segment_fixed_size: 0
    .sgpr_count:     16
    .sgpr_spill_count: 0
    .symbol:         _Z30warp_striped_to_blocked_kernelI6__halfS0_Lj512ELj4EEvPT_PT0_.kd
    .uniform_work_group_size: 1
    .uses_dynamic_stack: false
    .vgpr_count:     11
    .vgpr_spill_count: 0
    .wavefront_size: 32
    .workgroup_processor_mode: 1
  - .args:
      - .address_space:  global
        .offset:         0
        .size:           8
        .value_kind:     global_buffer
      - .address_space:  global
        .offset:         8
        .size:           8
        .value_kind:     global_buffer
    .group_segment_fixed_size: 1056
    .kernarg_segment_align: 8
    .kernarg_segment_size: 16
    .language:       OpenCL C
    .language_version:
      - 2
      - 0
    .max_flat_workgroup_size: 512
    .name:           _Z30warp_striped_to_blocked_kernelI12hip_bfloat16S0_Lj512ELj4EEvPT_PT0_
    .private_segment_fixed_size: 0
    .sgpr_count:     16
    .sgpr_spill_count: 0
    .symbol:         _Z30warp_striped_to_blocked_kernelI12hip_bfloat16S0_Lj512ELj4EEvPT_PT0_.kd
    .uniform_work_group_size: 1
    .uses_dynamic_stack: false
    .vgpr_count:     11
    .vgpr_spill_count: 0
    .wavefront_size: 32
    .workgroup_processor_mode: 1
  - .args:
      - .address_space:  global
        .offset:         0
        .size:           8
        .value_kind:     global_buffer
      - .address_space:  global
        .offset:         8
        .size:           8
        .value_kind:     global_buffer
    .group_segment_fixed_size: 2112
    .kernarg_segment_align: 8
    .kernarg_segment_size: 16
    .language:       OpenCL C
    .language_version:
      - 2
      - 0
    .max_flat_workgroup_size: 512
    .name:           _Z30warp_striped_to_blocked_kernelIfdLj512ELj4EEvPT_PT0_
    .private_segment_fixed_size: 0
    .sgpr_count:     16
    .sgpr_spill_count: 0
    .symbol:         _Z30warp_striped_to_blocked_kernelIfdLj512ELj4EEvPT_PT0_.kd
    .uniform_work_group_size: 1
    .uses_dynamic_stack: false
    .vgpr_count:     15
    .vgpr_spill_count: 0
    .wavefront_size: 32
    .workgroup_processor_mode: 1
  - .args:
      - .address_space:  global
        .offset:         0
        .size:           8
        .value_kind:     global_buffer
      - .address_space:  global
        .offset:         8
        .size:           8
        .value_kind:     global_buffer
    .group_segment_fixed_size: 2112
    .kernarg_segment_align: 8
    .kernarg_segment_size: 16
    .language:       OpenCL C
    .language_version:
      - 2
      - 0
    .max_flat_workgroup_size: 512
    .name:           _Z30warp_striped_to_blocked_kernelIiiLj512ELj4EEvPT_PT0_
    .private_segment_fixed_size: 0
    .sgpr_count:     16
    .sgpr_spill_count: 0
    .symbol:         _Z30warp_striped_to_blocked_kernelIiiLj512ELj4EEvPT_PT0_.kd
    .uniform_work_group_size: 1
    .uses_dynamic_stack: false
    .vgpr_count:     15
    .vgpr_spill_count: 0
    .wavefront_size: 32
    .workgroup_processor_mode: 1
  - .args:
      - .address_space:  global
        .offset:         0
        .size:           8
        .value_kind:     global_buffer
      - .address_space:  global
        .offset:         8
        .size:           8
        .value_kind:     global_buffer
      - .address_space:  global
        .offset:         16
        .size:           8
        .value_kind:     global_buffer
    .group_segment_fixed_size: 4224
    .kernarg_segment_align: 8
    .kernarg_segment_size: 24
    .language:       OpenCL C
    .language_version:
      - 2
      - 0
    .max_flat_workgroup_size: 512
    .name:           _Z25scatter_to_blocked_kernelIsiLj2106ELj9EEvPT_PT0_Pj
    .private_segment_fixed_size: 0
    .sgpr_count:     16
    .sgpr_spill_count: 0
    .symbol:         _Z25scatter_to_blocked_kernelIsiLj2106ELj9EEvPT_PT0_Pj.kd
    .uniform_work_group_size: 1
    .uses_dynamic_stack: false
    .vgpr_count:     16
    .vgpr_spill_count: 0
    .wavefront_size: 32
    .workgroup_processor_mode: 1
  - .args:
      - .address_space:  global
        .offset:         0
        .size:           8
        .value_kind:     global_buffer
      - .address_space:  global
        .offset:         8
        .size:           8
        .value_kind:     global_buffer
      - .address_space:  global
        .offset:         16
        .size:           8
        .value_kind:     global_buffer
    .group_segment_fixed_size: 608
    .kernarg_segment_align: 8
    .kernarg_segment_size: 24
    .language:       OpenCL C
    .language_version:
      - 2
      - 0
    .max_flat_workgroup_size: 512
    .name:           _Z25scatter_to_blocked_kernelItjLj300ELj3EEvPT_PT0_Pj
    .private_segment_fixed_size: 0
    .sgpr_count:     16
    .sgpr_spill_count: 0
    .symbol:         _Z25scatter_to_blocked_kernelItjLj300ELj3EEvPT_PT0_Pj.kd
    .uniform_work_group_size: 1
    .uses_dynamic_stack: false
    .vgpr_count:     7
    .vgpr_spill_count: 0
    .wavefront_size: 32
    .workgroup_processor_mode: 1
  - .args:
      - .address_space:  global
        .offset:         0
        .size:           8
        .value_kind:     global_buffer
      - .address_space:  global
        .offset:         8
        .size:           8
        .value_kind:     global_buffer
      - .address_space:  global
        .offset:         16
        .size:           8
        .value_kind:     global_buffer
    .group_segment_fixed_size: 960
    .kernarg_segment_align: 8
    .kernarg_segment_size: 24
    .language:       OpenCL C
    .language_version:
      - 2
      - 0
    .max_flat_workgroup_size: 512
    .name:           _Z25scatter_to_blocked_kernelIc5dummyIdELj928ELj2EEvPT_PT0_Pj
    .private_segment_fixed_size: 0
    .sgpr_count:     16
    .sgpr_spill_count: 0
    .symbol:         _Z25scatter_to_blocked_kernelIc5dummyIdELj928ELj2EEvPT_PT0_Pj.kd
    .uniform_work_group_size: 1
    .uses_dynamic_stack: false
    .vgpr_count:     9
    .vgpr_spill_count: 0
    .wavefront_size: 32
    .workgroup_processor_mode: 1
  - .args:
      - .address_space:  global
        .offset:         0
        .size:           8
        .value_kind:     global_buffer
      - .address_space:  global
        .offset:         8
        .size:           8
        .value_kind:     global_buffer
      - .address_space:  global
        .offset:         16
        .size:           8
        .value_kind:     global_buffer
    .group_segment_fixed_size: 672
    .kernarg_segment_align: 8
    .kernarg_segment_size: 24
    .language:       OpenCL C
    .language_version:
      - 2
      - 0
    .max_flat_workgroup_size: 512
    .name:           _Z25scatter_to_blocked_kernelIfiLj165ELj5EEvPT_PT0_Pj
    .private_segment_fixed_size: 0
    .sgpr_count:     16
    .sgpr_spill_count: 0
    .symbol:         _Z25scatter_to_blocked_kernelIfiLj165ELj5EEvPT_PT0_Pj.kd
    .uniform_work_group_size: 1
    .uses_dynamic_stack: false
    .vgpr_count:     11
    .vgpr_spill_count: 0
    .wavefront_size: 32
    .workgroup_processor_mode: 1
  - .args:
      - .address_space:  global
        .offset:         0
        .size:           8
        .value_kind:     global_buffer
      - .address_space:  global
        .offset:         8
        .size:           8
        .value_kind:     global_buffer
      - .address_space:  global
        .offset:         16
        .size:           8
        .value_kind:     global_buffer
    .group_segment_fixed_size: 672
    .kernarg_segment_align: 8
    .kernarg_segment_size: 24
    .language:       OpenCL C
    .language_version:
      - 2
      - 0
    .max_flat_workgroup_size: 512
    .name:           _Z25scatter_to_blocked_kernelIidLj165ELj5EEvPT_PT0_Pj
    .private_segment_fixed_size: 0
    .sgpr_count:     16
    .sgpr_spill_count: 0
    .symbol:         _Z25scatter_to_blocked_kernelIidLj165ELj5EEvPT_PT0_Pj.kd
    .uniform_work_group_size: 1
    .uses_dynamic_stack: false
    .vgpr_count:     12
    .vgpr_spill_count: 0
    .wavefront_size: 32
    .workgroup_processor_mode: 1
  - .args:
      - .address_space:  global
        .offset:         0
        .size:           8
        .value_kind:     global_buffer
      - .address_space:  global
        .offset:         8
        .size:           8
        .value_kind:     global_buffer
      - .address_space:  global
        .offset:         16
        .size:           8
        .value_kind:     global_buffer
    .group_segment_fixed_size: 1536
    .kernarg_segment_align: 8
    .kernarg_segment_size: 24
    .language:       OpenCL C
    .language_version:
      - 2
      - 0
    .max_flat_workgroup_size: 512
    .name:           _Z25scatter_to_blocked_kernelIyyLj192ELj3EEvPT_PT0_Pj
    .private_segment_fixed_size: 0
    .sgpr_count:     16
    .sgpr_spill_count: 0
    .symbol:         _Z25scatter_to_blocked_kernelIyyLj192ELj3EEvPT_PT0_Pj.kd
    .uniform_work_group_size: 1
    .uses_dynamic_stack: false
    .vgpr_count:     10
    .vgpr_spill_count: 0
    .wavefront_size: 32
    .workgroup_processor_mode: 1
  - .args:
      - .address_space:  global
        .offset:         0
        .size:           8
        .value_kind:     global_buffer
      - .address_space:  global
        .offset:         8
        .size:           8
        .value_kind:     global_buffer
      - .address_space:  global
        .offset:         16
        .size:           8
        .value_kind:     global_buffer
    .group_segment_fixed_size: 1536
    .kernarg_segment_align: 8
    .kernarg_segment_size: 24
    .language:       OpenCL C
    .language_version:
      - 2
      - 0
    .max_flat_workgroup_size: 512
    .name:           _Z25scatter_to_blocked_kernelIiiLj384ELj3EEvPT_PT0_Pj
    .private_segment_fixed_size: 0
    .sgpr_count:     16
    .sgpr_spill_count: 0
    .symbol:         _Z25scatter_to_blocked_kernelIiiLj384ELj3EEvPT_PT0_Pj.kd
    .uniform_work_group_size: 1
    .uses_dynamic_stack: false
    .vgpr_count:     7
    .vgpr_spill_count: 0
    .wavefront_size: 32
    .workgroup_processor_mode: 1
  - .args:
      - .address_space:  global
        .offset:         0
        .size:           8
        .value_kind:     global_buffer
      - .address_space:  global
        .offset:         8
        .size:           8
        .value_kind:     global_buffer
      - .address_space:  global
        .offset:         16
        .size:           8
        .value_kind:     global_buffer
    .group_segment_fixed_size: 1792
    .kernarg_segment_align: 8
    .kernarg_segment_size: 24
    .language:       OpenCL C
    .language_version:
      - 2
      - 0
    .max_flat_workgroup_size: 512
    .name:           _Z25scatter_to_blocked_kernelIs5dummyIfELj896ELj7EEvPT_PT0_Pj
    .private_segment_fixed_size: 0
    .sgpr_count:     16
    .sgpr_spill_count: 0
    .symbol:         _Z25scatter_to_blocked_kernelIs5dummyIfELj896ELj7EEvPT_PT0_Pj.kd
    .uniform_work_group_size: 1
    .uses_dynamic_stack: false
    .vgpr_count:     21
    .vgpr_spill_count: 0
    .wavefront_size: 32
    .workgroup_processor_mode: 1
  - .args:
      - .address_space:  global
        .offset:         0
        .size:           8
        .value_kind:     global_buffer
      - .address_space:  global
        .offset:         8
        .size:           8
        .value_kind:     global_buffer
      - .address_space:  global
        .offset:         16
        .size:           8
        .value_kind:     global_buffer
    .group_segment_fixed_size: 10240
    .kernarg_segment_align: 8
    .kernarg_segment_size: 24
    .language:       OpenCL C
    .language_version:
      - 2
      - 0
    .max_flat_workgroup_size: 512
    .name:           _Z25scatter_to_blocked_kernelIiiLj2560ELj5EEvPT_PT0_Pj
    .private_segment_fixed_size: 0
    .sgpr_count:     16
    .sgpr_spill_count: 0
    .symbol:         _Z25scatter_to_blocked_kernelIiiLj2560ELj5EEvPT_PT0_Pj.kd
    .uniform_work_group_size: 1
    .uses_dynamic_stack: false
    .vgpr_count:     11
    .vgpr_spill_count: 0
    .wavefront_size: 32
    .workgroup_processor_mode: 1
  - .args:
      - .address_space:  global
        .offset:         0
        .size:           8
        .value_kind:     global_buffer
      - .address_space:  global
        .offset:         8
        .size:           8
        .value_kind:     global_buffer
      - .address_space:  global
        .offset:         16
        .size:           8
        .value_kind:     global_buffer
    .group_segment_fixed_size: 8448
    .kernarg_segment_align: 8
    .kernarg_segment_size: 24
    .language:       OpenCL C
    .language_version:
      - 2
      - 0
    .max_flat_workgroup_size: 512
    .name:           _Z25scatter_to_blocked_kernelIxxLj1024ELj4EEvPT_PT0_Pj
    .private_segment_fixed_size: 0
    .sgpr_count:     16
    .sgpr_spill_count: 0
    .symbol:         _Z25scatter_to_blocked_kernelIxxLj1024ELj4EEvPT_PT0_Pj.kd
    .uniform_work_group_size: 1
    .uses_dynamic_stack: false
    .vgpr_count:     19
    .vgpr_spill_count: 0
    .wavefront_size: 32
    .workgroup_processor_mode: 1
  - .args:
      - .address_space:  global
        .offset:         0
        .size:           8
        .value_kind:     global_buffer
      - .address_space:  global
        .offset:         8
        .size:           8
        .value_kind:     global_buffer
      - .address_space:  global
        .offset:         16
        .size:           8
        .value_kind:     global_buffer
    .group_segment_fixed_size: 528
    .kernarg_segment_align: 8
    .kernarg_segment_size: 24
    .language:       OpenCL C
    .language_version:
      - 2
      - 0
    .max_flat_workgroup_size: 512
    .name:           _Z25scatter_to_blocked_kernelIiiLj128ELj2EEvPT_PT0_Pj
    .private_segment_fixed_size: 0
    .sgpr_count:     16
    .sgpr_spill_count: 0
    .symbol:         _Z25scatter_to_blocked_kernelIiiLj128ELj2EEvPT_PT0_Pj.kd
    .uniform_work_group_size: 1
    .uses_dynamic_stack: false
    .vgpr_count:     9
    .vgpr_spill_count: 0
    .wavefront_size: 32
    .workgroup_processor_mode: 1
  - .args:
      - .address_space:  global
        .offset:         0
        .size:           8
        .value_kind:     global_buffer
      - .address_space:  global
        .offset:         8
        .size:           8
        .value_kind:     global_buffer
      - .address_space:  global
        .offset:         16
        .size:           8
        .value_kind:     global_buffer
    .group_segment_fixed_size: 4096
    .kernarg_segment_align: 8
    .kernarg_segment_size: 24
    .language:       OpenCL C
    .language_version:
      - 2
      - 0
    .max_flat_workgroup_size: 512
    .name:           _Z25scatter_to_blocked_kernelIxxLj512ELj1EEvPT_PT0_Pj
    .private_segment_fixed_size: 0
    .sgpr_count:     16
    .sgpr_spill_count: 0
    .symbol:         _Z25scatter_to_blocked_kernelIxxLj512ELj1EEvPT_PT0_Pj.kd
    .uniform_work_group_size: 1
    .uses_dynamic_stack: false
    .vgpr_count:     4
    .vgpr_spill_count: 0
    .wavefront_size: 32
    .workgroup_processor_mode: 1
  - .args:
      - .address_space:  global
        .offset:         0
        .size:           8
        .value_kind:     global_buffer
      - .address_space:  global
        .offset:         8
        .size:           8
        .value_kind:     global_buffer
      - .address_space:  global
        .offset:         16
        .size:           8
        .value_kind:     global_buffer
    .group_segment_fixed_size: 512
    .kernarg_segment_align: 8
    .kernarg_segment_size: 24
    .language:       OpenCL C
    .language_version:
      - 2
      - 0
    .max_flat_workgroup_size: 512
    .name:           _Z25scatter_to_blocked_kernelIs5dummyIiELj256ELj1EEvPT_PT0_Pj
    .private_segment_fixed_size: 0
    .sgpr_count:     16
    .sgpr_spill_count: 0
    .symbol:         _Z25scatter_to_blocked_kernelIs5dummyIiELj256ELj1EEvPT_PT0_Pj.kd
    .uniform_work_group_size: 1
    .uses_dynamic_stack: false
    .vgpr_count:     4
    .vgpr_spill_count: 0
    .wavefront_size: 32
    .workgroup_processor_mode: 1
  - .args:
      - .address_space:  global
        .offset:         0
        .size:           8
        .value_kind:     global_buffer
      - .address_space:  global
        .offset:         8
        .size:           8
        .value_kind:     global_buffer
      - .address_space:  global
        .offset:         16
        .size:           8
        .value_kind:     global_buffer
    .group_segment_fixed_size: 1024
    .kernarg_segment_align: 8
    .kernarg_segment_size: 24
    .language:       OpenCL C
    .language_version:
      - 2
      - 0
    .max_flat_workgroup_size: 512
    .name:           _Z25scatter_to_blocked_kernelIyyLj128ELj1EEvPT_PT0_Pj
    .private_segment_fixed_size: 0
    .sgpr_count:     16
    .sgpr_spill_count: 0
    .symbol:         _Z25scatter_to_blocked_kernelIyyLj128ELj1EEvPT_PT0_Pj.kd
    .uniform_work_group_size: 1
    .uses_dynamic_stack: false
    .vgpr_count:     4
    .vgpr_spill_count: 0
    .wavefront_size: 32
    .workgroup_processor_mode: 1
  - .args:
      - .address_space:  global
        .offset:         0
        .size:           8
        .value_kind:     global_buffer
      - .address_space:  global
        .offset:         8
        .size:           8
        .value_kind:     global_buffer
      - .address_space:  global
        .offset:         16
        .size:           8
        .value_kind:     global_buffer
    .group_segment_fixed_size: 256
    .kernarg_segment_align: 8
    .kernarg_segment_size: 24
    .language:       OpenCL C
    .language_version:
      - 2
      - 0
    .max_flat_workgroup_size: 512
    .name:           _Z25scatter_to_blocked_kernelIixLj64ELj1EEvPT_PT0_Pj
    .private_segment_fixed_size: 0
    .sgpr_count:     16
    .sgpr_spill_count: 0
    .symbol:         _Z25scatter_to_blocked_kernelIixLj64ELj1EEvPT_PT0_Pj.kd
    .uniform_work_group_size: 1
    .uses_dynamic_stack: false
    .vgpr_count:     4
    .vgpr_spill_count: 0
    .wavefront_size: 32
    .workgroup_processor_mode: 1
  - .args:
      - .address_space:  global
        .offset:         0
        .size:           8
        .value_kind:     global_buffer
      - .address_space:  global
        .offset:         8
        .size:           8
        .value_kind:     global_buffer
      - .address_space:  global
        .offset:         16
        .size:           8
        .value_kind:     global_buffer
    .group_segment_fixed_size: 1056
    .kernarg_segment_align: 8
    .kernarg_segment_size: 24
    .language:       OpenCL C
    .language_version:
      - 2
      - 0
    .max_flat_workgroup_size: 512
    .name:           _Z25scatter_to_blocked_kernelI6__halfS0_Lj512ELj4EEvPT_PT0_Pj
    .private_segment_fixed_size: 0
    .sgpr_count:     16
    .sgpr_spill_count: 0
    .symbol:         _Z25scatter_to_blocked_kernelI6__halfS0_Lj512ELj4EEvPT_PT0_Pj.kd
    .uniform_work_group_size: 1
    .uses_dynamic_stack: false
    .vgpr_count:     13
    .vgpr_spill_count: 0
    .wavefront_size: 32
    .workgroup_processor_mode: 1
  - .args:
      - .address_space:  global
        .offset:         0
        .size:           8
        .value_kind:     global_buffer
      - .address_space:  global
        .offset:         8
        .size:           8
        .value_kind:     global_buffer
      - .address_space:  global
        .offset:         16
        .size:           8
        .value_kind:     global_buffer
    .group_segment_fixed_size: 1056
    .kernarg_segment_align: 8
    .kernarg_segment_size: 24
    .language:       OpenCL C
    .language_version:
      - 2
      - 0
    .max_flat_workgroup_size: 512
    .name:           _Z25scatter_to_blocked_kernelI12hip_bfloat16S0_Lj512ELj4EEvPT_PT0_Pj
    .private_segment_fixed_size: 0
    .sgpr_count:     16
    .sgpr_spill_count: 0
    .symbol:         _Z25scatter_to_blocked_kernelI12hip_bfloat16S0_Lj512ELj4EEvPT_PT0_Pj.kd
    .uniform_work_group_size: 1
    .uses_dynamic_stack: false
    .vgpr_count:     13
    .vgpr_spill_count: 0
    .wavefront_size: 32
    .workgroup_processor_mode: 1
  - .args:
      - .address_space:  global
        .offset:         0
        .size:           8
        .value_kind:     global_buffer
      - .address_space:  global
        .offset:         8
        .size:           8
        .value_kind:     global_buffer
      - .address_space:  global
        .offset:         16
        .size:           8
        .value_kind:     global_buffer
    .group_segment_fixed_size: 2112
    .kernarg_segment_align: 8
    .kernarg_segment_size: 24
    .language:       OpenCL C
    .language_version:
      - 2
      - 0
    .max_flat_workgroup_size: 512
    .name:           _Z25scatter_to_blocked_kernelIfdLj512ELj4EEvPT_PT0_Pj
    .private_segment_fixed_size: 0
    .sgpr_count:     16
    .sgpr_spill_count: 0
    .symbol:         _Z25scatter_to_blocked_kernelIfdLj512ELj4EEvPT_PT0_Pj.kd
    .uniform_work_group_size: 1
    .uses_dynamic_stack: false
    .vgpr_count:     15
    .vgpr_spill_count: 0
    .wavefront_size: 32
    .workgroup_processor_mode: 1
  - .args:
      - .address_space:  global
        .offset:         0
        .size:           8
        .value_kind:     global_buffer
      - .address_space:  global
        .offset:         8
        .size:           8
        .value_kind:     global_buffer
      - .address_space:  global
        .offset:         16
        .size:           8
        .value_kind:     global_buffer
    .group_segment_fixed_size: 2112
    .kernarg_segment_align: 8
    .kernarg_segment_size: 24
    .language:       OpenCL C
    .language_version:
      - 2
      - 0
    .max_flat_workgroup_size: 512
    .name:           _Z25scatter_to_blocked_kernelIiiLj512ELj4EEvPT_PT0_Pj
    .private_segment_fixed_size: 0
    .sgpr_count:     16
    .sgpr_spill_count: 0
    .symbol:         _Z25scatter_to_blocked_kernelIiiLj512ELj4EEvPT_PT0_Pj.kd
    .uniform_work_group_size: 1
    .uses_dynamic_stack: false
    .vgpr_count:     15
    .vgpr_spill_count: 0
    .wavefront_size: 32
    .workgroup_processor_mode: 1
  - .args:
      - .address_space:  global
        .offset:         0
        .size:           8
        .value_kind:     global_buffer
      - .address_space:  global
        .offset:         8
        .size:           8
        .value_kind:     global_buffer
      - .address_space:  global
        .offset:         16
        .size:           8
        .value_kind:     global_buffer
    .group_segment_fixed_size: 4224
    .kernarg_segment_align: 8
    .kernarg_segment_size: 24
    .language:       OpenCL C
    .language_version:
      - 2
      - 0
    .max_flat_workgroup_size: 512
    .name:           _Z25scatter_to_striped_kernelIsiLj2106ELj9EEvPT_PT0_Pj
    .private_segment_fixed_size: 0
    .sgpr_count:     16
    .sgpr_spill_count: 0
    .symbol:         _Z25scatter_to_striped_kernelIsiLj2106ELj9EEvPT_PT0_Pj.kd
    .uniform_work_group_size: 1
    .uses_dynamic_stack: false
    .vgpr_count:     17
    .vgpr_spill_count: 0
    .wavefront_size: 32
    .workgroup_processor_mode: 1
  - .args:
      - .address_space:  global
        .offset:         0
        .size:           8
        .value_kind:     global_buffer
      - .address_space:  global
        .offset:         8
        .size:           8
        .value_kind:     global_buffer
      - .address_space:  global
        .offset:         16
        .size:           8
        .value_kind:     global_buffer
    .group_segment_fixed_size: 608
    .kernarg_segment_align: 8
    .kernarg_segment_size: 24
    .language:       OpenCL C
    .language_version:
      - 2
      - 0
    .max_flat_workgroup_size: 512
    .name:           _Z25scatter_to_striped_kernelItjLj300ELj3EEvPT_PT0_Pj
    .private_segment_fixed_size: 0
    .sgpr_count:     16
    .sgpr_spill_count: 0
    .symbol:         _Z25scatter_to_striped_kernelItjLj300ELj3EEvPT_PT0_Pj.kd
    .uniform_work_group_size: 1
    .uses_dynamic_stack: false
    .vgpr_count:     8
    .vgpr_spill_count: 0
    .wavefront_size: 32
    .workgroup_processor_mode: 1
  - .args:
      - .address_space:  global
        .offset:         0
        .size:           8
        .value_kind:     global_buffer
      - .address_space:  global
        .offset:         8
        .size:           8
        .value_kind:     global_buffer
      - .address_space:  global
        .offset:         16
        .size:           8
        .value_kind:     global_buffer
    .group_segment_fixed_size: 960
    .kernarg_segment_align: 8
    .kernarg_segment_size: 24
    .language:       OpenCL C
    .language_version:
      - 2
      - 0
    .max_flat_workgroup_size: 512
    .name:           _Z25scatter_to_striped_kernelIc5dummyIdELj928ELj2EEvPT_PT0_Pj
    .private_segment_fixed_size: 0
    .sgpr_count:     16
    .sgpr_spill_count: 0
    .symbol:         _Z25scatter_to_striped_kernelIc5dummyIdELj928ELj2EEvPT_PT0_Pj.kd
    .uniform_work_group_size: 1
    .uses_dynamic_stack: false
    .vgpr_count:     9
    .vgpr_spill_count: 0
    .wavefront_size: 32
    .workgroup_processor_mode: 1
  - .args:
      - .address_space:  global
        .offset:         0
        .size:           8
        .value_kind:     global_buffer
      - .address_space:  global
        .offset:         8
        .size:           8
        .value_kind:     global_buffer
      - .address_space:  global
        .offset:         16
        .size:           8
        .value_kind:     global_buffer
    .group_segment_fixed_size: 672
    .kernarg_segment_align: 8
    .kernarg_segment_size: 24
    .language:       OpenCL C
    .language_version:
      - 2
      - 0
    .max_flat_workgroup_size: 512
    .name:           _Z25scatter_to_striped_kernelIfiLj165ELj5EEvPT_PT0_Pj
    .private_segment_fixed_size: 0
    .sgpr_count:     16
    .sgpr_spill_count: 0
    .symbol:         _Z25scatter_to_striped_kernelIfiLj165ELj5EEvPT_PT0_Pj.kd
    .uniform_work_group_size: 1
    .uses_dynamic_stack: false
    .vgpr_count:     13
    .vgpr_spill_count: 0
    .wavefront_size: 32
    .workgroup_processor_mode: 1
  - .args:
      - .address_space:  global
        .offset:         0
        .size:           8
        .value_kind:     global_buffer
      - .address_space:  global
        .offset:         8
        .size:           8
        .value_kind:     global_buffer
      - .address_space:  global
        .offset:         16
        .size:           8
        .value_kind:     global_buffer
    .group_segment_fixed_size: 672
    .kernarg_segment_align: 8
    .kernarg_segment_size: 24
    .language:       OpenCL C
    .language_version:
      - 2
      - 0
    .max_flat_workgroup_size: 512
    .name:           _Z25scatter_to_striped_kernelIidLj165ELj5EEvPT_PT0_Pj
    .private_segment_fixed_size: 0
    .sgpr_count:     16
    .sgpr_spill_count: 0
    .symbol:         _Z25scatter_to_striped_kernelIidLj165ELj5EEvPT_PT0_Pj.kd
    .uniform_work_group_size: 1
    .uses_dynamic_stack: false
    .vgpr_count:     12
    .vgpr_spill_count: 0
    .wavefront_size: 32
    .workgroup_processor_mode: 1
  - .args:
      - .address_space:  global
        .offset:         0
        .size:           8
        .value_kind:     global_buffer
      - .address_space:  global
        .offset:         8
        .size:           8
        .value_kind:     global_buffer
      - .address_space:  global
        .offset:         16
        .size:           8
        .value_kind:     global_buffer
    .group_segment_fixed_size: 1536
    .kernarg_segment_align: 8
    .kernarg_segment_size: 24
    .language:       OpenCL C
    .language_version:
      - 2
      - 0
    .max_flat_workgroup_size: 512
    .name:           _Z25scatter_to_striped_kernelIyyLj192ELj3EEvPT_PT0_Pj
    .private_segment_fixed_size: 0
    .sgpr_count:     16
    .sgpr_spill_count: 0
    .symbol:         _Z25scatter_to_striped_kernelIyyLj192ELj3EEvPT_PT0_Pj.kd
    .uniform_work_group_size: 1
    .uses_dynamic_stack: false
    .vgpr_count:     12
    .vgpr_spill_count: 0
    .wavefront_size: 32
    .workgroup_processor_mode: 1
  - .args:
      - .address_space:  global
        .offset:         0
        .size:           8
        .value_kind:     global_buffer
      - .address_space:  global
        .offset:         8
        .size:           8
        .value_kind:     global_buffer
      - .address_space:  global
        .offset:         16
        .size:           8
        .value_kind:     global_buffer
    .group_segment_fixed_size: 1536
    .kernarg_segment_align: 8
    .kernarg_segment_size: 24
    .language:       OpenCL C
    .language_version:
      - 2
      - 0
    .max_flat_workgroup_size: 512
    .name:           _Z25scatter_to_striped_kernelIiiLj384ELj3EEvPT_PT0_Pj
    .private_segment_fixed_size: 0
    .sgpr_count:     16
    .sgpr_spill_count: 0
    .symbol:         _Z25scatter_to_striped_kernelIiiLj384ELj3EEvPT_PT0_Pj.kd
    .uniform_work_group_size: 1
    .uses_dynamic_stack: false
    .vgpr_count:     9
    .vgpr_spill_count: 0
    .wavefront_size: 32
    .workgroup_processor_mode: 1
  - .args:
      - .address_space:  global
        .offset:         0
        .size:           8
        .value_kind:     global_buffer
      - .address_space:  global
        .offset:         8
        .size:           8
        .value_kind:     global_buffer
      - .address_space:  global
        .offset:         16
        .size:           8
        .value_kind:     global_buffer
    .group_segment_fixed_size: 1792
    .kernarg_segment_align: 8
    .kernarg_segment_size: 24
    .language:       OpenCL C
    .language_version:
      - 2
      - 0
    .max_flat_workgroup_size: 512
    .name:           _Z25scatter_to_striped_kernelIs5dummyIfELj896ELj7EEvPT_PT0_Pj
    .private_segment_fixed_size: 0
    .sgpr_count:     16
    .sgpr_spill_count: 0
    .symbol:         _Z25scatter_to_striped_kernelIs5dummyIfELj896ELj7EEvPT_PT0_Pj.kd
    .uniform_work_group_size: 1
    .uses_dynamic_stack: false
    .vgpr_count:     21
    .vgpr_spill_count: 0
    .wavefront_size: 32
    .workgroup_processor_mode: 1
  - .args:
      - .address_space:  global
        .offset:         0
        .size:           8
        .value_kind:     global_buffer
      - .address_space:  global
        .offset:         8
        .size:           8
        .value_kind:     global_buffer
      - .address_space:  global
        .offset:         16
        .size:           8
        .value_kind:     global_buffer
    .group_segment_fixed_size: 10240
    .kernarg_segment_align: 8
    .kernarg_segment_size: 24
    .language:       OpenCL C
    .language_version:
      - 2
      - 0
    .max_flat_workgroup_size: 512
    .name:           _Z25scatter_to_striped_kernelIiiLj2560ELj5EEvPT_PT0_Pj
    .private_segment_fixed_size: 0
    .sgpr_count:     16
    .sgpr_spill_count: 0
    .symbol:         _Z25scatter_to_striped_kernelIiiLj2560ELj5EEvPT_PT0_Pj.kd
    .uniform_work_group_size: 1
    .uses_dynamic_stack: false
    .vgpr_count:     13
    .vgpr_spill_count: 0
    .wavefront_size: 32
    .workgroup_processor_mode: 1
  - .args:
      - .address_space:  global
        .offset:         0
        .size:           8
        .value_kind:     global_buffer
      - .address_space:  global
        .offset:         8
        .size:           8
        .value_kind:     global_buffer
      - .address_space:  global
        .offset:         16
        .size:           8
        .value_kind:     global_buffer
    .group_segment_fixed_size: 8448
    .kernarg_segment_align: 8
    .kernarg_segment_size: 24
    .language:       OpenCL C
    .language_version:
      - 2
      - 0
    .max_flat_workgroup_size: 512
    .name:           _Z25scatter_to_striped_kernelIxxLj1024ELj4EEvPT_PT0_Pj
    .private_segment_fixed_size: 0
    .sgpr_count:     16
    .sgpr_spill_count: 0
    .symbol:         _Z25scatter_to_striped_kernelIxxLj1024ELj4EEvPT_PT0_Pj.kd
    .uniform_work_group_size: 1
    .uses_dynamic_stack: false
    .vgpr_count:     15
    .vgpr_spill_count: 0
    .wavefront_size: 32
    .workgroup_processor_mode: 1
  - .args:
      - .address_space:  global
        .offset:         0
        .size:           8
        .value_kind:     global_buffer
      - .address_space:  global
        .offset:         8
        .size:           8
        .value_kind:     global_buffer
      - .address_space:  global
        .offset:         16
        .size:           8
        .value_kind:     global_buffer
    .group_segment_fixed_size: 528
    .kernarg_segment_align: 8
    .kernarg_segment_size: 24
    .language:       OpenCL C
    .language_version:
      - 2
      - 0
    .max_flat_workgroup_size: 512
    .name:           _Z25scatter_to_striped_kernelIiiLj128ELj2EEvPT_PT0_Pj
    .private_segment_fixed_size: 0
    .sgpr_count:     16
    .sgpr_spill_count: 0
    .symbol:         _Z25scatter_to_striped_kernelIiiLj128ELj2EEvPT_PT0_Pj.kd
    .uniform_work_group_size: 1
    .uses_dynamic_stack: false
    .vgpr_count:     6
    .vgpr_spill_count: 0
    .wavefront_size: 32
    .workgroup_processor_mode: 1
  - .args:
      - .address_space:  global
        .offset:         0
        .size:           8
        .value_kind:     global_buffer
      - .address_space:  global
        .offset:         8
        .size:           8
        .value_kind:     global_buffer
      - .address_space:  global
        .offset:         16
        .size:           8
        .value_kind:     global_buffer
    .group_segment_fixed_size: 4096
    .kernarg_segment_align: 8
    .kernarg_segment_size: 24
    .language:       OpenCL C
    .language_version:
      - 2
      - 0
    .max_flat_workgroup_size: 512
    .name:           _Z25scatter_to_striped_kernelIxxLj512ELj1EEvPT_PT0_Pj
    .private_segment_fixed_size: 0
    .sgpr_count:     16
    .sgpr_spill_count: 0
    .symbol:         _Z25scatter_to_striped_kernelIxxLj512ELj1EEvPT_PT0_Pj.kd
    .uniform_work_group_size: 1
    .uses_dynamic_stack: false
    .vgpr_count:     4
    .vgpr_spill_count: 0
    .wavefront_size: 32
    .workgroup_processor_mode: 1
  - .args:
      - .address_space:  global
        .offset:         0
        .size:           8
        .value_kind:     global_buffer
      - .address_space:  global
        .offset:         8
        .size:           8
        .value_kind:     global_buffer
      - .address_space:  global
        .offset:         16
        .size:           8
        .value_kind:     global_buffer
    .group_segment_fixed_size: 512
    .kernarg_segment_align: 8
    .kernarg_segment_size: 24
    .language:       OpenCL C
    .language_version:
      - 2
      - 0
    .max_flat_workgroup_size: 512
    .name:           _Z25scatter_to_striped_kernelIs5dummyIiELj256ELj1EEvPT_PT0_Pj
    .private_segment_fixed_size: 0
    .sgpr_count:     16
    .sgpr_spill_count: 0
    .symbol:         _Z25scatter_to_striped_kernelIs5dummyIiELj256ELj1EEvPT_PT0_Pj.kd
    .uniform_work_group_size: 1
    .uses_dynamic_stack: false
    .vgpr_count:     4
    .vgpr_spill_count: 0
    .wavefront_size: 32
    .workgroup_processor_mode: 1
  - .args:
      - .address_space:  global
        .offset:         0
        .size:           8
        .value_kind:     global_buffer
      - .address_space:  global
        .offset:         8
        .size:           8
        .value_kind:     global_buffer
      - .address_space:  global
        .offset:         16
        .size:           8
        .value_kind:     global_buffer
    .group_segment_fixed_size: 1024
    .kernarg_segment_align: 8
    .kernarg_segment_size: 24
    .language:       OpenCL C
    .language_version:
      - 2
      - 0
    .max_flat_workgroup_size: 512
    .name:           _Z25scatter_to_striped_kernelIyyLj128ELj1EEvPT_PT0_Pj
    .private_segment_fixed_size: 0
    .sgpr_count:     16
    .sgpr_spill_count: 0
    .symbol:         _Z25scatter_to_striped_kernelIyyLj128ELj1EEvPT_PT0_Pj.kd
    .uniform_work_group_size: 1
    .uses_dynamic_stack: false
    .vgpr_count:     4
    .vgpr_spill_count: 0
    .wavefront_size: 32
    .workgroup_processor_mode: 1
  - .args:
      - .address_space:  global
        .offset:         0
        .size:           8
        .value_kind:     global_buffer
      - .address_space:  global
        .offset:         8
        .size:           8
        .value_kind:     global_buffer
      - .address_space:  global
        .offset:         16
        .size:           8
        .value_kind:     global_buffer
    .group_segment_fixed_size: 256
    .kernarg_segment_align: 8
    .kernarg_segment_size: 24
    .language:       OpenCL C
    .language_version:
      - 2
      - 0
    .max_flat_workgroup_size: 512
    .name:           _Z25scatter_to_striped_kernelIixLj64ELj1EEvPT_PT0_Pj
    .private_segment_fixed_size: 0
    .sgpr_count:     16
    .sgpr_spill_count: 0
    .symbol:         _Z25scatter_to_striped_kernelIixLj64ELj1EEvPT_PT0_Pj.kd
    .uniform_work_group_size: 1
    .uses_dynamic_stack: false
    .vgpr_count:     4
    .vgpr_spill_count: 0
    .wavefront_size: 32
    .workgroup_processor_mode: 1
  - .args:
      - .address_space:  global
        .offset:         0
        .size:           8
        .value_kind:     global_buffer
      - .address_space:  global
        .offset:         8
        .size:           8
        .value_kind:     global_buffer
      - .address_space:  global
        .offset:         16
        .size:           8
        .value_kind:     global_buffer
    .group_segment_fixed_size: 1056
    .kernarg_segment_align: 8
    .kernarg_segment_size: 24
    .language:       OpenCL C
    .language_version:
      - 2
      - 0
    .max_flat_workgroup_size: 512
    .name:           _Z25scatter_to_striped_kernelI6__halfS0_Lj512ELj4EEvPT_PT0_Pj
    .private_segment_fixed_size: 0
    .sgpr_count:     16
    .sgpr_spill_count: 0
    .symbol:         _Z25scatter_to_striped_kernelI6__halfS0_Lj512ELj4EEvPT_PT0_Pj.kd
    .uniform_work_group_size: 1
    .uses_dynamic_stack: false
    .vgpr_count:     9
    .vgpr_spill_count: 0
    .wavefront_size: 32
    .workgroup_processor_mode: 1
  - .args:
      - .address_space:  global
        .offset:         0
        .size:           8
        .value_kind:     global_buffer
      - .address_space:  global
        .offset:         8
        .size:           8
        .value_kind:     global_buffer
      - .address_space:  global
        .offset:         16
        .size:           8
        .value_kind:     global_buffer
    .group_segment_fixed_size: 1056
    .kernarg_segment_align: 8
    .kernarg_segment_size: 24
    .language:       OpenCL C
    .language_version:
      - 2
      - 0
    .max_flat_workgroup_size: 512
    .name:           _Z25scatter_to_striped_kernelI12hip_bfloat16S0_Lj512ELj4EEvPT_PT0_Pj
    .private_segment_fixed_size: 0
    .sgpr_count:     16
    .sgpr_spill_count: 0
    .symbol:         _Z25scatter_to_striped_kernelI12hip_bfloat16S0_Lj512ELj4EEvPT_PT0_Pj.kd
    .uniform_work_group_size: 1
    .uses_dynamic_stack: false
    .vgpr_count:     9
    .vgpr_spill_count: 0
    .wavefront_size: 32
    .workgroup_processor_mode: 1
  - .args:
      - .address_space:  global
        .offset:         0
        .size:           8
        .value_kind:     global_buffer
      - .address_space:  global
        .offset:         8
        .size:           8
        .value_kind:     global_buffer
      - .address_space:  global
        .offset:         16
        .size:           8
        .value_kind:     global_buffer
    .group_segment_fixed_size: 2112
    .kernarg_segment_align: 8
    .kernarg_segment_size: 24
    .language:       OpenCL C
    .language_version:
      - 2
      - 0
    .max_flat_workgroup_size: 512
    .name:           _Z25scatter_to_striped_kernelIfdLj512ELj4EEvPT_PT0_Pj
    .private_segment_fixed_size: 0
    .sgpr_count:     16
    .sgpr_spill_count: 0
    .symbol:         _Z25scatter_to_striped_kernelIfdLj512ELj4EEvPT_PT0_Pj.kd
    .uniform_work_group_size: 1
    .uses_dynamic_stack: false
    .vgpr_count:     10
    .vgpr_spill_count: 0
    .wavefront_size: 32
    .workgroup_processor_mode: 1
  - .args:
      - .address_space:  global
        .offset:         0
        .size:           8
        .value_kind:     global_buffer
      - .address_space:  global
        .offset:         8
        .size:           8
        .value_kind:     global_buffer
      - .address_space:  global
        .offset:         16
        .size:           8
        .value_kind:     global_buffer
    .group_segment_fixed_size: 2112
    .kernarg_segment_align: 8
    .kernarg_segment_size: 24
    .language:       OpenCL C
    .language_version:
      - 2
      - 0
    .max_flat_workgroup_size: 512
    .name:           _Z25scatter_to_striped_kernelIiiLj512ELj4EEvPT_PT0_Pj
    .private_segment_fixed_size: 0
    .sgpr_count:     16
    .sgpr_spill_count: 0
    .symbol:         _Z25scatter_to_striped_kernelIiiLj512ELj4EEvPT_PT0_Pj.kd
    .uniform_work_group_size: 1
    .uses_dynamic_stack: false
    .vgpr_count:     11
    .vgpr_spill_count: 0
    .wavefront_size: 32
    .workgroup_processor_mode: 1
amdhsa.target:   amdgcn-amd-amdhsa--gfx1100
amdhsa.version:
  - 1
  - 2
...

	.end_amdgpu_metadata
